;; amdgpu-corpus repo=ROCm/rocFFT kind=compiled arch=gfx906 opt=O3
	.text
	.amdgcn_target "amdgcn-amd-amdhsa--gfx906"
	.amdhsa_code_object_version 6
	.protected	bluestein_single_fwd_len750_dim1_half_op_CI_CI ; -- Begin function bluestein_single_fwd_len750_dim1_half_op_CI_CI
	.globl	bluestein_single_fwd_len750_dim1_half_op_CI_CI
	.p2align	8
	.type	bluestein_single_fwd_len750_dim1_half_op_CI_CI,@function
bluestein_single_fwd_len750_dim1_half_op_CI_CI: ; @bluestein_single_fwd_len750_dim1_half_op_CI_CI
; %bb.0:
	s_load_dwordx4 s[0:3], s[4:5], 0x28
	v_mul_u32_u24_e32 v1, 0x107, v0
	v_add_u32_sdwa v8, s6, v1 dst_sel:DWORD dst_unused:UNUSED_PAD src0_sel:DWORD src1_sel:WORD_1
	v_mov_b32_e32 v9, 0
	s_waitcnt lgkmcnt(0)
	v_cmp_gt_u64_e32 vcc, s[0:1], v[8:9]
	s_and_saveexec_b64 s[0:1], vcc
	s_cbranch_execz .LBB0_31
; %bb.1:
	s_load_dwordx2 s[6:7], s[4:5], 0x0
	s_load_dwordx2 s[12:13], s[4:5], 0x38
	s_movk_i32 s0, 0xfa
	v_mul_lo_u16_sdwa v1, v1, s0 dst_sel:DWORD dst_unused:UNUSED_PAD src0_sel:WORD_1 src1_sel:DWORD
	v_sub_u16_e32 v22, v0, v1
	s_movk_i32 s0, 0x4b
	v_cmp_gt_u16_e64 s[0:1], s0, v22
	v_lshlrev_b32_e32 v21, 2, v22
	s_and_saveexec_b64 s[8:9], s[0:1]
	s_cbranch_execz .LBB0_3
; %bb.2:
	s_load_dwordx2 s[10:11], s[4:5], 0x18
	s_waitcnt lgkmcnt(0)
	s_load_dwordx4 s[16:19], s[10:11], 0x0
	s_waitcnt lgkmcnt(0)
	v_mad_u64_u32 v[0:1], s[10:11], s18, v8, 0
	v_mad_u64_u32 v[2:3], s[10:11], s16, v22, 0
	;; [unrolled: 1-line block ×4, first 2 shown]
	v_mov_b32_e32 v1, v4
	v_lshlrev_b64 v[0:1], 2, v[0:1]
	v_mov_b32_e32 v3, v5
	v_mov_b32_e32 v6, s3
	v_lshlrev_b64 v[2:3], 2, v[2:3]
	v_add_co_u32_e32 v0, vcc, s2, v0
	v_addc_co_u32_e32 v1, vcc, v6, v1, vcc
	v_add_co_u32_e32 v0, vcc, v0, v2
	s_mul_i32 s2, s17, 0x12c
	s_mul_hi_u32 s3, s16, 0x12c
	v_addc_co_u32_e32 v1, vcc, v1, v3, vcc
	s_add_i32 s2, s3, s2
	s_mul_i32 s3, s16, 0x12c
	global_load_dword v2, v[0:1], off
	global_load_dword v3, v21, s[6:7]
	v_mov_b32_e32 v4, s2
	v_add_co_u32_e32 v0, vcc, s3, v0
	v_addc_co_u32_e32 v1, vcc, v1, v4, vcc
	global_load_dword v4, v[0:1], off
	global_load_dword v5, v21, s[6:7] offset:300
	v_mov_b32_e32 v6, s2
	v_add_co_u32_e32 v0, vcc, s3, v0
	v_addc_co_u32_e32 v1, vcc, v1, v6, vcc
	global_load_dword v6, v[0:1], off
	global_load_dword v7, v21, s[6:7] offset:600
	;; [unrolled: 5-line block ×5, first 2 shown]
	global_load_dword v15, v21, s[6:7] offset:1800
	v_mov_b32_e32 v16, s2
	v_add_co_u32_e32 v0, vcc, s3, v0
	v_addc_co_u32_e32 v1, vcc, v1, v16, vcc
	global_load_dword v16, v[0:1], off
	v_mov_b32_e32 v17, s2
	v_add_co_u32_e32 v0, vcc, s3, v0
	v_addc_co_u32_e32 v1, vcc, v1, v17, vcc
	global_load_dword v17, v[0:1], off
	global_load_dword v18, v21, s[6:7] offset:2100
	v_mov_b32_e32 v19, s2
	v_add_co_u32_e32 v0, vcc, s3, v0
	v_addc_co_u32_e32 v1, vcc, v1, v19, vcc
	global_load_dword v20, v[0:1], off
	global_load_dword v23, v21, s[6:7] offset:2400
	v_add_co_u32_e32 v0, vcc, s3, v0
	v_addc_co_u32_e32 v1, vcc, v1, v19, vcc
	global_load_dword v19, v[0:1], off
	global_load_dword v24, v21, s[6:7] offset:2700
	s_waitcnt vmcnt(19)
	v_lshrrev_b32_e32 v0, 16, v2
	s_waitcnt vmcnt(18)
	v_mul_f16_sdwa v1, v3, v2 dst_sel:DWORD dst_unused:UNUSED_PAD src0_sel:WORD_1 src1_sel:DWORD
	v_fma_f16 v1, v3, v0, -v1
	v_mul_f16_sdwa v0, v3, v0 dst_sel:DWORD dst_unused:UNUSED_PAD src0_sel:WORD_1 src1_sel:DWORD
	v_fma_f16 v0, v3, v2, v0
	v_pack_b32_f16 v0, v0, v1
	s_waitcnt vmcnt(17)
	v_lshrrev_b32_e32 v25, 16, v4
	s_waitcnt vmcnt(16)
	v_mul_f16_sdwa v26, v5, v4 dst_sel:DWORD dst_unused:UNUSED_PAD src0_sel:WORD_1 src1_sel:DWORD
	v_mul_f16_sdwa v3, v5, v25 dst_sel:DWORD dst_unused:UNUSED_PAD src0_sel:WORD_1 src1_sel:DWORD
	v_fma_f16 v2, v5, v25, -v26
	v_fma_f16 v3, v5, v4, v3
	v_pack_b32_f16 v1, v3, v2
	s_waitcnt vmcnt(15)
	v_lshrrev_b32_e32 v25, 16, v6
	ds_write2_b32 v21, v0, v1 offset1:75
	s_waitcnt vmcnt(14)
	v_mul_f16_sdwa v26, v7, v6 dst_sel:DWORD dst_unused:UNUSED_PAD src0_sel:WORD_1 src1_sel:DWORD
	v_mul_f16_sdwa v5, v7, v25 dst_sel:DWORD dst_unused:UNUSED_PAD src0_sel:WORD_1 src1_sel:DWORD
	v_fma_f16 v4, v7, v25, -v26
	v_fma_f16 v5, v7, v6, v5
	s_waitcnt vmcnt(13)
	v_lshrrev_b32_e32 v0, 16, v9
	s_waitcnt vmcnt(12)
	v_mul_f16_sdwa v1, v10, v9 dst_sel:DWORD dst_unused:UNUSED_PAD src0_sel:WORD_1 src1_sel:DWORD
	v_fma_f16 v1, v10, v0, -v1
	v_mul_f16_sdwa v0, v10, v0 dst_sel:DWORD dst_unused:UNUSED_PAD src0_sel:WORD_1 src1_sel:DWORD
	v_fma_f16 v0, v10, v9, v0
	v_pack_b32_f16 v2, v5, v4
	v_pack_b32_f16 v0, v0, v1
	ds_write2_b32 v21, v2, v0 offset0:150 offset1:225
	s_waitcnt vmcnt(11)
	v_lshrrev_b32_e32 v0, 16, v11
	s_waitcnt vmcnt(10)
	v_mul_f16_sdwa v1, v13, v0 dst_sel:DWORD dst_unused:UNUSED_PAD src0_sel:WORD_1 src1_sel:DWORD
	v_mul_f16_sdwa v2, v13, v11 dst_sel:DWORD dst_unused:UNUSED_PAD src0_sel:WORD_1 src1_sel:DWORD
	v_fma_f16 v1, v13, v11, v1
	v_fma_f16 v0, v13, v0, -v2
	v_pack_b32_f16 v0, v1, v0
	s_waitcnt vmcnt(9)
	v_lshrrev_b32_e32 v1, 16, v12
	s_waitcnt vmcnt(8)
	v_mul_f16_sdwa v2, v14, v1 dst_sel:DWORD dst_unused:UNUSED_PAD src0_sel:WORD_1 src1_sel:DWORD
	v_mul_f16_sdwa v3, v14, v12 dst_sel:DWORD dst_unused:UNUSED_PAD src0_sel:WORD_1 src1_sel:DWORD
	v_fma_f16 v2, v14, v12, v2
	v_fma_f16 v1, v14, v1, -v3
	v_pack_b32_f16 v1, v2, v1
	v_add_u32_e32 v2, 0x400, v21
	ds_write2_b32 v2, v0, v1 offset0:44 offset1:119
	s_waitcnt vmcnt(6)
	v_lshrrev_b32_e32 v0, 16, v16
	v_mul_f16_sdwa v1, v15, v0 dst_sel:DWORD dst_unused:UNUSED_PAD src0_sel:WORD_1 src1_sel:DWORD
	v_mul_f16_sdwa v2, v15, v16 dst_sel:DWORD dst_unused:UNUSED_PAD src0_sel:WORD_1 src1_sel:DWORD
	v_fma_f16 v1, v15, v16, v1
	v_fma_f16 v0, v15, v0, -v2
	v_pack_b32_f16 v0, v1, v0
	s_waitcnt vmcnt(5)
	v_lshrrev_b32_e32 v1, 16, v17
	s_waitcnt vmcnt(4)
	v_mul_f16_sdwa v2, v18, v1 dst_sel:DWORD dst_unused:UNUSED_PAD src0_sel:WORD_1 src1_sel:DWORD
	v_mul_f16_sdwa v3, v18, v17 dst_sel:DWORD dst_unused:UNUSED_PAD src0_sel:WORD_1 src1_sel:DWORD
	v_fma_f16 v2, v18, v17, v2
	v_fma_f16 v1, v18, v1, -v3
	v_pack_b32_f16 v1, v2, v1
	v_add_u32_e32 v2, 0x600, v21
	ds_write2_b32 v2, v0, v1 offset0:66 offset1:141
	s_waitcnt vmcnt(3)
	v_lshrrev_b32_e32 v0, 16, v20
	s_waitcnt vmcnt(2)
	v_mul_f16_sdwa v1, v23, v0 dst_sel:DWORD dst_unused:UNUSED_PAD src0_sel:WORD_1 src1_sel:DWORD
	v_mul_f16_sdwa v2, v23, v20 dst_sel:DWORD dst_unused:UNUSED_PAD src0_sel:WORD_1 src1_sel:DWORD
	v_fma_f16 v1, v23, v20, v1
	v_fma_f16 v0, v23, v0, -v2
	v_pack_b32_f16 v0, v1, v0
	s_waitcnt vmcnt(1)
	v_lshrrev_b32_e32 v1, 16, v19
	s_waitcnt vmcnt(0)
	v_mul_f16_sdwa v2, v24, v1 dst_sel:DWORD dst_unused:UNUSED_PAD src0_sel:WORD_1 src1_sel:DWORD
	v_mul_f16_sdwa v3, v24, v19 dst_sel:DWORD dst_unused:UNUSED_PAD src0_sel:WORD_1 src1_sel:DWORD
	v_fma_f16 v2, v24, v19, v2
	v_fma_f16 v1, v24, v1, -v3
	v_pack_b32_f16 v1, v2, v1
	v_add_u32_e32 v2, 0x800, v21
	ds_write2_b32 v2, v0, v1 offset0:88 offset1:163
.LBB0_3:
	s_or_b64 exec, exec, s[8:9]
	s_waitcnt lgkmcnt(0)
	s_barrier
	s_waitcnt lgkmcnt(0)
                                        ; implicit-def: $vgpr0
                                        ; implicit-def: $vgpr2
                                        ; implicit-def: $vgpr9
                                        ; implicit-def: $vgpr4
                                        ; implicit-def: $vgpr6
	s_and_saveexec_b64 s[2:3], s[0:1]
	s_cbranch_execz .LBB0_5
; %bb.4:
	v_add_u32_e32 v4, 0x400, v21
	ds_read2_b32 v[0:1], v21 offset1:75
	ds_read2_b32 v[2:3], v21 offset0:150 offset1:225
	ds_read2_b32 v[9:10], v4 offset0:44 offset1:119
	v_add_u32_e32 v4, 0x600, v21
	v_add_u32_e32 v6, 0x800, v21
	ds_read2_b32 v[4:5], v4 offset0:66 offset1:141
	ds_read2_b32 v[6:7], v6 offset0:88 offset1:163
.LBB0_5:
	s_or_b64 exec, exec, s[2:3]
	s_waitcnt lgkmcnt(3)
	v_pk_add_f16 v19, v1, v3
	s_waitcnt lgkmcnt(2)
	v_pk_add_f16 v19, v19, v10
	v_pk_add_f16 v11, v0, v2
	s_waitcnt lgkmcnt(1)
	v_add_f16_e32 v12, v9, v4
	v_pk_add_f16 v19, v19, v5
	v_pk_add_f16 v11, v11, v9
	v_add_f16_e32 v20, v10, v5
	v_sub_f16_sdwa v23, v10, v5 dst_sel:DWORD dst_unused:UNUSED_PAD src0_sel:WORD_1 src1_sel:WORD_1
	v_sub_f16_e32 v24, v3, v10
	v_sub_f16_e32 v25, v10, v3
	v_add_f16_sdwa v26, v10, v5 dst_sel:DWORD dst_unused:UNUSED_PAD src0_sel:WORD_1 src1_sel:WORD_1
	v_sub_f16_e32 v27, v10, v5
	v_sub_f16_sdwa v28, v3, v10 dst_sel:DWORD dst_unused:UNUSED_PAD src0_sel:WORD_1 src1_sel:WORD_1
	v_sub_f16_sdwa v10, v10, v3 dst_sel:DWORD dst_unused:UNUSED_PAD src0_sel:WORD_1 src1_sel:WORD_1
	s_waitcnt lgkmcnt(0)
	v_sub_f16_sdwa v29, v2, v6 dst_sel:DWORD dst_unused:UNUSED_PAD src0_sel:WORD_1 src1_sel:WORD_1
	v_sub_f16_sdwa v32, v3, v7 dst_sel:DWORD dst_unused:UNUSED_PAD src0_sel:WORD_1 src1_sel:WORD_1
	v_add_f16_e32 v33, v3, v7
	v_sub_f16_e32 v34, v3, v7
	v_add_f16_sdwa v3, v3, v7 dst_sel:DWORD dst_unused:UNUSED_PAD src0_sel:WORD_1 src1_sel:WORD_1
	v_sub_f16_e32 v38, v7, v5
	v_sub_f16_e32 v39, v5, v7
	v_sub_f16_sdwa v40, v7, v5 dst_sel:DWORD dst_unused:UNUSED_PAD src0_sel:WORD_1 src1_sel:WORD_1
	v_sub_f16_sdwa v5, v5, v7 dst_sel:DWORD dst_unused:UNUSED_PAD src0_sel:WORD_1 src1_sel:WORD_1
	v_pk_add_f16 v41, v19, v7
	v_fma_f16 v7, v12, -0.5, v0
	s_movk_i32 s2, 0x3b9c
	s_mov_b32 s9, 0xbb9c
	v_sub_f16_sdwa v13, v9, v4 dst_sel:DWORD dst_unused:UNUSED_PAD src0_sel:WORD_1 src1_sel:WORD_1
	v_sub_f16_e32 v14, v2, v9
	v_add_f16_e32 v30, v2, v6
	v_pk_add_f16 v11, v11, v4
	v_sub_f16_e32 v35, v6, v4
	s_movk_i32 s3, 0x38b4
	v_fma_f16 v12, v29, s2, v7
	v_fma_f16 v7, v29, s9, v7
	s_mov_b32 s10, 0xb8b4
	v_sub_f16_e32 v15, v9, v2
	v_add_f16_sdwa v16, v9, v4 dst_sel:DWORD dst_unused:UNUSED_PAD src0_sel:WORD_1 src1_sel:WORD_1
	v_sub_f16_e32 v17, v9, v4
	v_sub_f16_sdwa v18, v2, v9 dst_sel:DWORD dst_unused:UNUSED_PAD src0_sel:WORD_1 src1_sel:WORD_1
	v_sub_f16_sdwa v9, v9, v2 dst_sel:DWORD dst_unused:UNUSED_PAD src0_sel:WORD_1 src1_sel:WORD_1
	v_sub_f16_e32 v31, v2, v6
	v_add_f16_sdwa v2, v2, v6 dst_sel:DWORD dst_unused:UNUSED_PAD src0_sel:WORD_1 src1_sel:WORD_1
	v_sub_f16_e32 v36, v4, v6
	v_sub_f16_sdwa v37, v6, v4 dst_sel:DWORD dst_unused:UNUSED_PAD src0_sel:WORD_1 src1_sel:WORD_1
	v_sub_f16_sdwa v4, v4, v6 dst_sel:DWORD dst_unused:UNUSED_PAD src0_sel:WORD_1 src1_sel:WORD_1
	v_pk_add_f16 v11, v11, v6
	v_add_f16_e32 v6, v14, v35
	v_fma_f16 v12, v13, s3, v12
	s_movk_i32 s8, 0x34f2
	v_fma_f16 v7, v13, s10, v7
	v_fma_f16 v14, v30, -0.5, v0
	v_fma_f16 v12, v6, s8, v12
	v_fma_f16 v6, v6, s8, v7
	v_add_f16_e32 v7, v15, v36
	v_fma_f16 v15, v13, s9, v14
	v_lshrrev_b32_e32 v0, 16, v0
	v_fma_f16 v13, v13, s2, v14
	v_fma_f16 v14, v29, s3, v15
	v_fma_f16 v15, v16, -0.5, v0
	v_fma_f16 v16, v31, s9, v15
	v_fma_f16 v15, v31, s2, v15
	v_fma_f16 v0, v2, -0.5, v0
	v_fma_f16 v13, v29, s10, v13
	v_fma_f16 v16, v17, s10, v16
	;; [unrolled: 1-line block ×3, first 2 shown]
	v_add_f16_e32 v2, v9, v4
	v_fma_f16 v4, v17, s2, v0
	v_fma_f16 v0, v17, s9, v0
	v_fma_f16 v9, v20, -0.5, v1
	v_fma_f16 v17, v33, -0.5, v1
	v_lshrrev_b32_e32 v1, 16, v1
	v_fma_f16 v14, v7, s8, v14
	v_fma_f16 v7, v7, s8, v13
	v_add_f16_e32 v13, v18, v37
	v_fma_f16 v19, v26, -0.5, v1
	v_fma_f16 v1, v3, -0.5, v1
	v_fma_f16 v16, v13, s8, v16
	v_fma_f16 v13, v13, s8, v15
	;; [unrolled: 1-line block ×6, first 2 shown]
	v_add_f16_e32 v3, v10, v5
	v_fma_f16 v5, v27, s2, v1
	v_fma_f16 v4, v2, s8, v4
	;; [unrolled: 1-line block ×3, first 2 shown]
	v_add_f16_e32 v2, v24, v38
	v_fma_f16 v15, v23, s3, v15
	v_fma_f16 v9, v23, s10, v9
	;; [unrolled: 1-line block ×7, first 2 shown]
	v_add_f16_e32 v9, v25, v39
	v_fma_f16 v17, v23, s2, v17
	v_fma_f16 v18, v32, s3, v18
	v_fma_f16 v1, v34, s3, v1
	v_fma_f16 v5, v3, s8, v5
	v_fma_f16 v17, v32, s10, v17
	v_fma_f16 v18, v9, s8, v18
	v_fma_f16 v1, v3, s8, v1
	v_mul_f16_e32 v3, 0x3a79, v15
	v_mul_f16_e32 v10, 0xb8b4, v15
	;; [unrolled: 1-line block ×3, first 2 shown]
	v_fma_f16 v9, v9, s8, v17
	v_fma_f16 v20, v34, s9, v19
	;; [unrolled: 1-line block ×4, first 2 shown]
	v_mul_f16_e32 v15, 0xbb9c, v18
	v_add_f16_e32 v17, v28, v40
	v_fma_f16 v20, v27, s10, v20
	v_fma_f16 v19, v27, s3, v19
	s_load_dwordx2 s[14:15], s[4:5], 0x8
	v_fma_f16 v5, v5, s8, v15
	v_mul_f16_e32 v15, 0x34f2, v9
	v_fma_f16 v20, v17, s8, v20
	v_fma_f16 v17, v17, s8, v19
	v_fma_f16 v24, v1, s2, -v15
	v_mul_f16_e32 v1, 0x34f2, v1
	s_movk_i32 s11, 0x3a79
	v_fma_f16 v1, v9, s9, -v1
	v_mul_f16_e32 v9, 0x3a79, v2
	v_mul_f16_e32 v15, 0x3a79, v17
	v_fma_f16 v3, v20, s3, v3
	v_fma_f16 v10, v20, s11, v10
	v_fma_f16 v9, v17, s3, -v9
	v_fma_f16 v2, v2, s10, -v15
	v_add_f16_e32 v17, v16, v10
	v_sub_f16_e32 v29, v16, v10
	v_add_f16_e32 v18, v4, v5
	v_sub_f16_e32 v26, v4, v5
	;; [unrolled: 2-line block ×5, first 2 shown]
	v_sub_f16_e32 v15, v7, v24
	v_add_f16_e32 v7, v7, v24
	v_add_f16_e32 v6, v14, v23
	v_sub_f16_e32 v14, v14, v23
	v_sub_f16_e32 v13, v12, v3
	v_add_f16_e32 v10, v12, v3
	v_pk_add_f16 v4, v11, v41
	v_pk_add_f16 v12, v11, v41 neg_lo:[0,1] neg_hi:[0,1]
	v_mul_lo_u16_e32 v24, 10, v22
	s_waitcnt lgkmcnt(0)
	s_barrier
	s_and_saveexec_b64 s[2:3], s[0:1]
	s_cbranch_execz .LBB0_7
; %bb.6:
	s_mov_b32 s8, 0x5040100
	v_lshlrev_b32_e32 v2, 2, v24
	v_perm_b32 v1, v19, v7, s8
	v_perm_b32 v0, v18, v6, s8
	;; [unrolled: 1-line block ×3, first 2 shown]
	ds_write2_b64 v2, v[4:5], v[0:1] offset1:1
	v_perm_b32 v1, v26, v14, s8
	v_perm_b32 v0, v29, v13, s8
	v_perm_b32 v11, v25, v20, s8
	ds_write2_b64 v2, v[11:12], v[0:1] offset0:2 offset1:3
	v_perm_b32 v1, v28, v16, s8
	v_perm_b32 v0, v30, v15, s8
	ds_write_b64 v2, v[0:1] offset:32
.LBB0_7:
	s_or_b64 exec, exec, s[2:3]
	s_load_dwordx2 s[4:5], s[4:5], 0x20
	s_movk_i32 s2, 0x96
	v_cmp_gt_u16_e64 s[2:3], s2, v22
	s_waitcnt lgkmcnt(0)
	s_barrier
	s_and_saveexec_b64 s[8:9], s[2:3]
	s_cbranch_execz .LBB0_9
; %bb.8:
	v_add_u32_e32 v0, 0x400, v21
	ds_read2_b32 v[9:10], v21 offset1:150
	ds_read2_b32 v[6:7], v0 offset0:44 offset1:194
	ds_read_b32 v20, v21 offset:2400
	s_waitcnt lgkmcnt(2)
	v_lshrrev_b32_e32 v17, 16, v10
	s_waitcnt lgkmcnt(1)
	v_lshrrev_b32_e32 v18, 16, v6
	v_lshrrev_b32_e32 v19, 16, v7
	s_waitcnt lgkmcnt(0)
	v_lshrrev_b32_e32 v25, 16, v20
	v_mov_b32_e32 v4, v9
.LBB0_9:
	s_or_b64 exec, exec, s[8:9]
	s_movk_i32 s8, 0xcd
	v_mul_lo_u16_sdwa v0, v22, s8 dst_sel:DWORD dst_unused:UNUSED_PAD src0_sel:BYTE_0 src1_sel:DWORD
	v_lshrrev_b16_e32 v45, 11, v0
	v_mul_lo_u16_e32 v0, 10, v45
	v_sub_u16_e32 v0, v22, v0
	v_and_b32_e32 v23, 0xff, v0
	v_lshlrev_b32_e32 v0, 4, v23
	global_load_dwordx4 v[0:3], v0, s[14:15]
	v_lshrrev_b32_e32 v5, 16, v4
	s_movk_i32 s8, 0x3b9c
	s_mov_b32 s11, 0xbb9c
	s_movk_i32 s9, 0x38b4
	s_mov_b32 s16, 0xb8b4
	s_movk_i32 s10, 0x34f2
	s_waitcnt vmcnt(0)
	s_barrier
	v_mul_f16_sdwa v9, v17, v0 dst_sel:DWORD dst_unused:UNUSED_PAD src0_sel:DWORD src1_sel:WORD_1
	v_mul_f16_sdwa v11, v10, v0 dst_sel:DWORD dst_unused:UNUSED_PAD src0_sel:DWORD src1_sel:WORD_1
	;; [unrolled: 1-line block ×8, first 2 shown]
	v_fma_f16 v9, v10, v0, -v9
	v_fma_f16 v17, v17, v0, v11
	v_fma_f16 v6, v6, v1, -v27
	v_fma_f16 v27, v18, v1, v31
	;; [unrolled: 2-line block ×4, first 2 shown]
	v_add_f16_e32 v11, v6, v7
	v_add_f16_e32 v31, v9, v10
	v_sub_f16_e32 v32, v6, v9
	v_sub_f16_e32 v39, v7, v10
	v_add_f16_e32 v40, v27, v19
	v_add_f16_e32 v46, v17, v20
	v_sub_f16_e32 v35, v17, v20
	v_sub_f16_e32 v36, v27, v19
	;; [unrolled: 1-line block ×6, first 2 shown]
	v_fma_f16 v33, v11, -0.5, v4
	v_fma_f16 v34, v31, -0.5, v4
	v_add_f16_e32 v43, v32, v39
	v_fma_f16 v39, v40, -0.5, v5
	v_fma_f16 v40, v46, -0.5, v5
	v_sub_f16_e32 v41, v17, v27
	v_sub_f16_e32 v42, v20, v19
	;; [unrolled: 1-line block ×4, first 2 shown]
	v_add_f16_e32 v44, v18, v25
	v_fma_f16 v11, v35, s11, v33
	v_fma_f16 v18, v36, s8, v34
	;; [unrolled: 1-line block ×4, first 2 shown]
	v_add_f16_e32 v42, v41, v42
	v_add_f16_e32 v41, v47, v48
	v_fma_f16 v11, v36, s16, v11
	v_fma_f16 v18, v35, s16, v18
	;; [unrolled: 1-line block ×8, first 2 shown]
	v_mul_u32_u24_e32 v25, 50, v45
	s_and_saveexec_b64 s[8:9], s[2:3]
	s_cbranch_execz .LBB0_11
; %bb.10:
	v_mul_f16_e32 v48, 0x38b4, v38
	v_mul_f16_e32 v38, 0x3b9c, v38
	v_add_f16_e32 v5, v5, v17
	v_mul_f16_e32 v45, 0x3b9c, v35
	v_mul_f16_e32 v47, 0x3b9c, v37
	;; [unrolled: 1-line block ×3, first 2 shown]
	v_add_f16_e32 v38, v38, v40
	v_add_f16_e32 v5, v5, v27
	v_add_f16_e32 v4, v4, v9
	v_mul_f16_e32 v46, 0x38b4, v36
	v_mul_f16_e32 v36, 0x3b9c, v36
	v_sub_f16_e32 v37, v38, v37
	v_sub_f16_e32 v38, v39, v47
	v_add_f16_e32 v5, v5, v19
	v_add_f16_e32 v19, v33, v45
	;; [unrolled: 1-line block ×3, first 2 shown]
	v_mul_f16_e32 v44, 0x34f2, v44
	v_mul_f16_e32 v35, 0x38b4, v35
	;; [unrolled: 1-line block ×3, first 2 shown]
	v_sub_f16_e32 v38, v38, v48
	v_sub_f16_e32 v17, v34, v36
	v_add_f16_e32 v19, v46, v19
	v_add_f16_e32 v4, v4, v7
	v_mul_f16_e32 v43, 0x34f2, v43
	v_mul_f16_e32 v41, 0x34f2, v41
	v_add_f16_e32 v38, v42, v38
	v_add_f16_e32 v5, v5, v20
	;; [unrolled: 1-line block ×7, first 2 shown]
	v_add_lshl_u32 v6, v25, v23, 2
	v_pack_b32_f16 v4, v4, v5
	v_pack_b32_f16 v5, v19, v38
	s_mov_b32 s10, 0x5040100
	ds_write2_b32 v6, v4, v5 offset1:10
	v_pack_b32_f16 v4, v17, v37
	v_perm_b32 v5, v32, v18, s10
	ds_write2_b32 v6, v4, v5 offset0:20 offset1:30
	v_perm_b32 v4, v31, v11, s10
	ds_write_b32 v6, v4 offset:160
.LBB0_11:
	s_or_b64 exec, exec, s[8:9]
	v_mov_b32_e32 v4, 41
	v_mul_lo_u16_sdwa v4, v22, v4 dst_sel:DWORD dst_unused:UNUSED_PAD src0_sel:BYTE_0 src1_sel:DWORD
	v_lshrrev_b16_e32 v6, 11, v4
	v_mul_lo_u16_e32 v4, 50, v6
	v_sub_u16_e32 v4, v22, v4
	v_and_b32_e32 v7, 0xff, v4
	v_lshlrev_b32_e32 v4, 3, v7
	s_load_dwordx4 s[8:11], s[4:5], 0x0
	s_waitcnt lgkmcnt(0)
	s_barrier
	global_load_dwordx2 v[9:10], v4, s[14:15] offset:160
	ds_read2_b32 v[4:5], v21 offset1:250
	ds_read_b32 v17, v21 offset:2000
	v_mul_u32_u24_e32 v6, 0x96, v6
	v_add_lshl_u32 v27, v6, v7, 2
	s_movk_i32 s4, 0x3aee
	s_waitcnt lgkmcnt(1)
	v_lshrrev_b32_e32 v19, 16, v5
	s_waitcnt lgkmcnt(0)
	v_lshrrev_b32_e32 v33, 16, v17
	v_lshrrev_b32_e32 v20, 16, v4
	s_mov_b32 s5, 0xbaee
	s_waitcnt vmcnt(0)
	s_barrier
	v_mul_f16_sdwa v6, v19, v9 dst_sel:DWORD dst_unused:UNUSED_PAD src0_sel:DWORD src1_sel:WORD_1
	v_mul_f16_sdwa v7, v5, v9 dst_sel:DWORD dst_unused:UNUSED_PAD src0_sel:DWORD src1_sel:WORD_1
	;; [unrolled: 1-line block ×4, first 2 shown]
	v_fma_f16 v5, v5, v9, -v6
	v_fma_f16 v6, v19, v9, v7
	v_fma_f16 v7, v17, v10, -v34
	v_fma_f16 v17, v33, v10, v35
	v_add_f16_e32 v33, v5, v7
	v_sub_f16_e32 v34, v6, v17
	v_add_f16_e32 v35, v20, v6
	v_add_f16_e32 v6, v6, v17
	;; [unrolled: 1-line block ×3, first 2 shown]
	v_sub_f16_e32 v5, v5, v7
	v_fma_f16 v4, v33, -0.5, v4
	v_fma_f16 v6, v6, -0.5, v20
	v_add_f16_e32 v19, v19, v7
	v_add_f16_e32 v33, v35, v17
	v_fma_f16 v20, v34, s4, v4
	v_fma_f16 v17, v34, s5, v4
	;; [unrolled: 1-line block ×4, first 2 shown]
	v_pack_b32_f16 v4, v19, v33
	v_pack_b32_f16 v5, v20, v34
	;; [unrolled: 1-line block ×3, first 2 shown]
	ds_write2_b32 v27, v4, v5 offset1:50
	ds_write_b32 v27, v6 offset:400
	s_waitcnt lgkmcnt(0)
	s_barrier
	s_and_saveexec_b64 s[4:5], s[2:3]
	s_cbranch_execz .LBB0_13
; %bb.12:
	v_add_u32_e32 v4, 0x400, v21
	ds_read2_b32 v[19:20], v21 offset1:150
	ds_read2_b32 v[17:18], v4 offset0:44 offset1:194
	ds_read_b32 v11, v21 offset:2400
	s_waitcnt lgkmcnt(2)
	v_lshrrev_b32_e32 v33, 16, v19
	v_lshrrev_b32_e32 v34, 16, v20
	s_waitcnt lgkmcnt(1)
	v_lshrrev_b32_e32 v35, 16, v17
	v_lshrrev_b32_e32 v32, 16, v18
	s_waitcnt lgkmcnt(0)
	v_lshrrev_b32_e32 v31, 16, v11
.LBB0_13:
	s_or_b64 exec, exec, s[4:5]
	v_add_co_u32_e32 v4, vcc, 0xfffffda8, v21
	v_addc_co_u32_e64 v5, s[4:5], 0, -1, vcc
	v_cndmask_b32_e64 v5, v5, 0, s[2:3]
	v_cndmask_b32_e64 v4, v4, v21, s[2:3]
	v_lshlrev_b64 v[4:5], 2, v[4:5]
	v_mov_b32_e32 v6, s15
	v_add_co_u32_e32 v4, vcc, s14, v4
	v_addc_co_u32_e32 v5, vcc, v6, v5, vcc
	global_load_dwordx4 v[4:7], v[4:5], off offset:560
	s_movk_i32 s4, 0x3b9c
	s_mov_b32 s15, 0xbb9c
	s_movk_i32 s5, 0x38b4
	s_movk_i32 s14, 0x34f2
	s_waitcnt vmcnt(0)
	v_mul_f16_sdwa v36, v34, v4 dst_sel:DWORD dst_unused:UNUSED_PAD src0_sel:DWORD src1_sel:WORD_1
	v_mul_f16_sdwa v37, v20, v4 dst_sel:DWORD dst_unused:UNUSED_PAD src0_sel:DWORD src1_sel:WORD_1
	;; [unrolled: 1-line block ×8, first 2 shown]
	v_fma_f16 v20, v20, v4, -v36
	v_fma_f16 v34, v34, v4, v37
	v_fma_f16 v17, v17, v5, -v38
	v_fma_f16 v35, v35, v5, v39
	;; [unrolled: 2-line block ×4, first 2 shown]
	v_add_f16_e32 v36, v19, v20
	v_add_f16_e32 v37, v17, v18
	v_sub_f16_e32 v40, v20, v17
	v_sub_f16_e32 v41, v11, v18
	v_add_f16_e32 v42, v20, v11
	v_add_f16_e32 v45, v33, v34
	;; [unrolled: 1-line block ×4, first 2 shown]
	v_sub_f16_e32 v38, v34, v31
	v_sub_f16_e32 v39, v35, v32
	;; [unrolled: 1-line block ×9, first 2 shown]
	v_add_f16_e32 v17, v36, v17
	v_fma_f16 v36, v37, -0.5, v19
	v_add_f16_e32 v37, v40, v41
	v_fma_f16 v19, v42, -0.5, v19
	;; [unrolled: 2-line block ×3, first 2 shown]
	v_fma_f16 v33, v50, -0.5, v33
	v_sub_f16_e32 v49, v31, v32
	v_add_f16_e32 v40, v43, v44
	v_add_f16_e32 v43, v34, v51
	;; [unrolled: 1-line block ×3, first 2 shown]
	v_fma_f16 v18, v38, s4, v36
	v_fma_f16 v34, v38, s15, v36
	;; [unrolled: 1-line block ×4, first 2 shown]
	v_add_f16_e32 v32, v35, v32
	v_fma_f16 v35, v20, s15, v41
	v_fma_f16 v41, v20, s4, v41
	;; [unrolled: 1-line block ×4, first 2 shown]
	v_add_f16_e32 v42, v48, v49
	v_add_f16_e32 v17, v17, v11
	v_fma_f16 v11, v39, s5, v18
	v_fma_f16 v34, v39, s16, v34
	;; [unrolled: 1-line block ×4, first 2 shown]
	v_add_f16_e32 v33, v32, v31
	v_fma_f16 v31, v47, s16, v35
	v_fma_f16 v32, v47, s5, v41
	;; [unrolled: 1-line block ×12, first 2 shown]
	s_and_saveexec_b64 s[4:5], s[2:3]
	s_cbranch_execz .LBB0_15
; %bb.14:
	s_mov_b32 s14, 0x5040100
	v_perm_b32 v36, v33, v17, s14
	v_perm_b32 v37, v31, v18, s14
	ds_write2_b32 v21, v36, v37 offset1:150
	v_perm_b32 v36, v34, v19, s14
	v_perm_b32 v37, v32, v20, s14
	v_add_u32_e32 v38, 0x400, v21
	ds_write2_b32 v38, v36, v37 offset0:44 offset1:194
	v_perm_b32 v36, v35, v11, s14
	ds_write_b32 v21, v36 offset:2400
.LBB0_15:
	s_or_b64 exec, exec, s[4:5]
	s_waitcnt lgkmcnt(0)
	s_barrier
	s_and_saveexec_b64 s[4:5], s[0:1]
	s_cbranch_execz .LBB0_17
; %bb.16:
	ds_read_b32 v36, v21
	global_load_dword v38, v21, s[6:7] offset:3000
	s_add_u32 s14, s6, 0xbb8
	s_addc_u32 s15, s7, 0
	s_waitcnt lgkmcnt(0)
	v_lshrrev_b32_e32 v37, 16, v36
	s_waitcnt vmcnt(0)
	v_mul_f16_sdwa v39, v37, v38 dst_sel:DWORD dst_unused:UNUSED_PAD src0_sel:DWORD src1_sel:WORD_1
	v_fma_f16 v39, v36, v38, -v39
	v_mul_f16_sdwa v36, v36, v38 dst_sel:DWORD dst_unused:UNUSED_PAD src0_sel:DWORD src1_sel:WORD_1
	v_fma_f16 v36, v37, v38, v36
	v_pack_b32_f16 v36, v39, v36
	global_load_dword v39, v21, s[14:15] offset:300
	ds_write_b32 v21, v36
	ds_read2_b32 v[36:37], v21 offset0:75 offset1:150
	s_waitcnt lgkmcnt(0)
	v_lshrrev_b32_e32 v38, 16, v36
	s_waitcnt vmcnt(0)
	v_mul_f16_sdwa v40, v38, v39 dst_sel:DWORD dst_unused:UNUSED_PAD src0_sel:DWORD src1_sel:WORD_1
	v_fma_f16 v40, v36, v39, -v40
	v_mul_f16_sdwa v36, v36, v39 dst_sel:DWORD dst_unused:UNUSED_PAD src0_sel:DWORD src1_sel:WORD_1
	v_fma_f16 v36, v38, v39, v36
	global_load_dword v39, v21, s[14:15] offset:600
	v_lshrrev_b32_e32 v38, 16, v37
	v_pack_b32_f16 v36, v40, v36
	s_waitcnt vmcnt(0)
	v_mul_f16_sdwa v40, v38, v39 dst_sel:DWORD dst_unused:UNUSED_PAD src0_sel:DWORD src1_sel:WORD_1
	v_fma_f16 v40, v37, v39, -v40
	v_mul_f16_sdwa v37, v37, v39 dst_sel:DWORD dst_unused:UNUSED_PAD src0_sel:DWORD src1_sel:WORD_1
	v_fma_f16 v37, v38, v39, v37
	v_pack_b32_f16 v37, v40, v37
	global_load_dword v40, v21, s[14:15] offset:900
	v_add_u32_e32 v38, 0x200, v21
	ds_write2_b32 v21, v36, v37 offset0:75 offset1:150
	ds_read2_b32 v[36:37], v38 offset0:97 offset1:172
	s_waitcnt lgkmcnt(0)
	v_lshrrev_b32_e32 v39, 16, v36
	s_waitcnt vmcnt(0)
	v_mul_f16_sdwa v41, v39, v40 dst_sel:DWORD dst_unused:UNUSED_PAD src0_sel:DWORD src1_sel:WORD_1
	v_fma_f16 v41, v36, v40, -v41
	v_mul_f16_sdwa v36, v36, v40 dst_sel:DWORD dst_unused:UNUSED_PAD src0_sel:DWORD src1_sel:WORD_1
	v_fma_f16 v36, v39, v40, v36
	global_load_dword v40, v21, s[14:15] offset:1200
	v_lshrrev_b32_e32 v39, 16, v37
	v_pack_b32_f16 v36, v41, v36
	s_waitcnt vmcnt(0)
	v_mul_f16_sdwa v41, v39, v40 dst_sel:DWORD dst_unused:UNUSED_PAD src0_sel:DWORD src1_sel:WORD_1
	v_fma_f16 v41, v37, v40, -v41
	v_mul_f16_sdwa v37, v37, v40 dst_sel:DWORD dst_unused:UNUSED_PAD src0_sel:DWORD src1_sel:WORD_1
	v_fma_f16 v37, v39, v40, v37
	global_load_dword v40, v21, s[14:15] offset:1500
	v_pack_b32_f16 v37, v41, v37
	ds_write2_b32 v38, v36, v37 offset0:97 offset1:172
	v_add_u32_e32 v38, 0x400, v21
	ds_read2_b32 v[36:37], v38 offset0:119 offset1:194
	s_waitcnt lgkmcnt(0)
	v_lshrrev_b32_e32 v39, 16, v36
	s_waitcnt vmcnt(0)
	v_mul_f16_sdwa v41, v39, v40 dst_sel:DWORD dst_unused:UNUSED_PAD src0_sel:DWORD src1_sel:WORD_1
	v_fma_f16 v41, v36, v40, -v41
	v_mul_f16_sdwa v36, v36, v40 dst_sel:DWORD dst_unused:UNUSED_PAD src0_sel:DWORD src1_sel:WORD_1
	v_fma_f16 v36, v39, v40, v36
	global_load_dword v40, v21, s[14:15] offset:1800
	v_lshrrev_b32_e32 v39, 16, v37
	v_pack_b32_f16 v36, v41, v36
	s_waitcnt vmcnt(0)
	v_mul_f16_sdwa v41, v39, v40 dst_sel:DWORD dst_unused:UNUSED_PAD src0_sel:DWORD src1_sel:WORD_1
	v_fma_f16 v41, v37, v40, -v41
	v_mul_f16_sdwa v37, v37, v40 dst_sel:DWORD dst_unused:UNUSED_PAD src0_sel:DWORD src1_sel:WORD_1
	v_fma_f16 v37, v39, v40, v37
	global_load_dword v40, v21, s[14:15] offset:2100
	v_pack_b32_f16 v37, v41, v37
	ds_write2_b32 v38, v36, v37 offset0:119 offset1:194
	v_add_u32_e32 v38, 0x800, v21
	ds_read2_b32 v[36:37], v38 offset0:13 offset1:88
	s_waitcnt lgkmcnt(0)
	v_lshrrev_b32_e32 v39, 16, v36
	s_waitcnt vmcnt(0)
	v_mul_f16_sdwa v41, v39, v40 dst_sel:DWORD dst_unused:UNUSED_PAD src0_sel:DWORD src1_sel:WORD_1
	v_fma_f16 v41, v36, v40, -v41
	v_mul_f16_sdwa v36, v36, v40 dst_sel:DWORD dst_unused:UNUSED_PAD src0_sel:DWORD src1_sel:WORD_1
	v_fma_f16 v36, v39, v40, v36
	global_load_dword v40, v21, s[14:15] offset:2400
	v_lshrrev_b32_e32 v39, 16, v37
	v_pack_b32_f16 v36, v41, v36
	s_waitcnt vmcnt(0)
	v_mul_f16_sdwa v41, v39, v40 dst_sel:DWORD dst_unused:UNUSED_PAD src0_sel:DWORD src1_sel:WORD_1
	v_fma_f16 v41, v37, v40, -v41
	v_mul_f16_sdwa v37, v37, v40 dst_sel:DWORD dst_unused:UNUSED_PAD src0_sel:DWORD src1_sel:WORD_1
	v_fma_f16 v37, v39, v40, v37
	v_pack_b32_f16 v37, v41, v37
	ds_write2_b32 v38, v36, v37 offset0:13 offset1:88
	ds_read_b32 v36, v21 offset:2700
	global_load_dword v38, v21, s[14:15] offset:2700
	s_waitcnt lgkmcnt(0)
	v_lshrrev_b32_e32 v37, 16, v36
	s_waitcnt vmcnt(0)
	v_mul_f16_sdwa v39, v37, v38 dst_sel:DWORD dst_unused:UNUSED_PAD src0_sel:DWORD src1_sel:WORD_1
	v_fma_f16 v39, v36, v38, -v39
	v_mul_f16_sdwa v36, v36, v38 dst_sel:DWORD dst_unused:UNUSED_PAD src0_sel:DWORD src1_sel:WORD_1
	v_fma_f16 v36, v37, v38, v36
	v_pack_b32_f16 v36, v39, v36
	ds_write_b32 v21, v36 offset:2700
.LBB0_17:
	s_or_b64 exec, exec, s[4:5]
	s_waitcnt lgkmcnt(0)
	s_barrier
	s_and_saveexec_b64 s[4:5], s[0:1]
	s_cbranch_execz .LBB0_19
; %bb.18:
	v_add_u32_e32 v11, 0x400, v21
	v_add_u32_e32 v13, 0x600, v21
	;; [unrolled: 1-line block ×3, first 2 shown]
	ds_read2_b32 v[17:18], v21 offset1:75
	ds_read2_b32 v[19:20], v21 offset0:150 offset1:225
	ds_read2_b32 v[11:12], v11 offset0:44 offset1:119
	;; [unrolled: 1-line block ×4, first 2 shown]
	s_waitcnt lgkmcnt(4)
	v_lshrrev_b32_e32 v33, 16, v17
	v_lshrrev_b32_e32 v31, 16, v18
	s_waitcnt lgkmcnt(3)
	v_lshrrev_b32_e32 v34, 16, v19
	v_lshrrev_b32_e32 v32, 16, v20
	s_waitcnt lgkmcnt(2)
	v_lshrrev_b32_e32 v35, 16, v11
	s_waitcnt lgkmcnt(1)
	v_lshrrev_b32_e32 v29, 16, v13
	v_lshrrev_b32_e32 v26, 16, v14
	s_waitcnt lgkmcnt(0)
	v_lshrrev_b32_e32 v30, 16, v15
	v_lshrrev_b32_e32 v28, 16, v16
.LBB0_19:
	s_or_b64 exec, exec, s[4:5]
	v_add_f16_e32 v37, v11, v13
	v_fma_f16 v38, v37, -0.5, v17
	v_sub_f16_e32 v39, v34, v30
	s_mov_b32 s4, 0xbb9c
	s_movk_i32 s15, 0x3b9c
	v_fma_f16 v37, v39, s4, v38
	v_sub_f16_e32 v40, v35, v29
	s_mov_b32 s5, 0xb8b4
	v_sub_f16_e32 v41, v19, v11
	v_sub_f16_e32 v42, v15, v13
	v_fma_f16 v38, v39, s15, v38
	s_movk_i32 s16, 0x38b4
	v_fma_f16 v37, v40, s5, v37
	v_add_f16_e32 v41, v41, v42
	s_movk_i32 s14, 0x34f2
	v_fma_f16 v38, v40, s16, v38
	v_add_f16_e32 v36, v17, v19
	v_fma_f16 v37, v41, s14, v37
	v_fma_f16 v38, v41, s14, v38
	v_add_f16_e32 v41, v19, v15
	v_add_f16_e32 v36, v36, v11
	v_fma_f16 v41, v41, -0.5, v17
	v_add_f16_e32 v36, v36, v13
	v_fma_f16 v17, v40, s15, v41
	v_fma_f16 v40, v40, s4, v41
	v_add_f16_e32 v41, v35, v29
	v_add_f16_e32 v36, v36, v15
	v_sub_f16_e32 v42, v11, v19
	v_sub_f16_e32 v43, v13, v15
	v_fma_f16 v41, v41, -0.5, v33
	v_sub_f16_e32 v15, v19, v15
	v_fma_f16 v17, v39, s5, v17
	v_add_f16_e32 v42, v42, v43
	v_fma_f16 v39, v39, s16, v40
	v_fma_f16 v19, v15, s15, v41
	v_sub_f16_e32 v11, v11, v13
	v_fma_f16 v17, v42, s14, v17
	v_fma_f16 v39, v42, s14, v39
	;; [unrolled: 1-line block ×3, first 2 shown]
	v_sub_f16_e32 v19, v34, v35
	v_sub_f16_e32 v42, v30, v29
	v_add_f16_e32 v42, v19, v42
	v_fma_f16 v19, v42, s14, v13
	v_fma_f16 v13, v15, s4, v41
	;; [unrolled: 1-line block ×3, first 2 shown]
	v_add_f16_e32 v40, v33, v34
	v_fma_f16 v41, v42, s14, v13
	v_add_f16_e32 v13, v34, v30
	v_add_f16_e32 v40, v40, v35
	v_fma_f16 v13, v13, -0.5, v33
	v_add_f16_e32 v40, v40, v29
	v_fma_f16 v33, v11, s4, v13
	v_sub_f16_e32 v34, v35, v34
	v_sub_f16_e32 v29, v29, v30
	v_fma_f16 v11, v11, s15, v13
	v_add_f16_e32 v40, v40, v30
	v_fma_f16 v33, v15, s16, v33
	v_add_f16_e32 v30, v34, v29
	v_fma_f16 v11, v15, s5, v11
	v_fma_f16 v29, v30, s14, v33
	;; [unrolled: 1-line block ×3, first 2 shown]
	v_add_f16_e32 v11, v18, v20
	v_add_f16_e32 v11, v11, v12
	;; [unrolled: 1-line block ×5, first 2 shown]
	v_fma_f16 v11, v11, -0.5, v18
	v_sub_f16_e32 v13, v32, v28
	v_fma_f16 v15, v13, s4, v11
	v_sub_f16_sdwa v34, v12, v26 dst_sel:DWORD dst_unused:UNUSED_PAD src0_sel:WORD_1 src1_sel:DWORD
	v_sub_f16_e32 v35, v20, v12
	v_sub_f16_e32 v42, v16, v14
	v_fma_f16 v11, v13, s15, v11
	v_add_f16_e32 v35, v35, v42
	v_fma_f16 v11, v34, s16, v11
	v_fma_f16 v46, v35, s14, v11
	v_add_f16_e32 v11, v20, v16
	v_fma_f16 v15, v34, s5, v15
	v_fma_f16 v11, v11, -0.5, v18
	v_fma_f16 v43, v35, s14, v15
	v_fma_f16 v15, v34, s15, v11
	v_sub_f16_e32 v18, v12, v20
	v_sub_f16_e32 v35, v14, v16
	v_fma_f16 v11, v34, s4, v11
	v_add_f16_e32 v18, v18, v35
	v_fma_f16 v11, v13, s16, v11
	v_fma_f16 v45, v18, s14, v11
	v_add_f16_e32 v11, v31, v32
	v_add_f16_sdwa v11, v11, v12 dst_sel:DWORD dst_unused:UNUSED_PAD src0_sel:DWORD src1_sel:WORD_1
	v_add_f16_e32 v11, v11, v26
	v_add_f16_e32 v34, v11, v28
	v_add_f16_sdwa v11, v12, v26 dst_sel:DWORD dst_unused:UNUSED_PAD src0_sel:WORD_1 src1_sel:DWORD
	v_fma_f16 v15, v13, s5, v15
	v_fma_f16 v11, v11, -0.5, v31
	v_sub_f16_e32 v13, v20, v16
	v_fma_f16 v44, v18, s14, v15
	v_fma_f16 v15, v13, s15, v11
	v_sub_f16_e32 v14, v12, v14
	v_sub_f16_sdwa v16, v32, v12 dst_sel:DWORD dst_unused:UNUSED_PAD src0_sel:DWORD src1_sel:WORD_1
	v_sub_f16_e32 v18, v28, v26
	v_fma_f16 v11, v13, s4, v11
	v_add_f16_e32 v16, v16, v18
	v_fma_f16 v11, v14, s5, v11
	v_fma_f16 v47, v16, s14, v11
	v_add_f16_e32 v11, v32, v28
	v_fma_f16 v15, v14, s16, v15
	v_fma_f16 v11, v11, -0.5, v31
	v_fma_f16 v18, v16, s14, v15
	v_fma_f16 v15, v14, s4, v11
	v_sub_f16_sdwa v12, v12, v32 dst_sel:DWORD dst_unused:UNUSED_PAD src0_sel:WORD_1 src1_sel:DWORD
	v_sub_f16_e32 v16, v26, v28
	v_fma_f16 v11, v14, s15, v11
	v_add_f16_e32 v12, v12, v16
	v_fma_f16 v11, v13, s5, v11
	v_fma_f16 v15, v13, s16, v15
	;; [unrolled: 1-line block ×4, first 2 shown]
	v_mul_f16_e32 v12, 0xb8b4, v18
	s_movk_i32 s4, 0x3a79
	v_mul_f16_e32 v14, 0xbb9c, v26
	s_mov_b32 s5, 0xb4f2
	v_mul_f16_e32 v28, 0x38b4, v43
	v_fma_f16 v31, v43, s4, v12
	v_mul_f16_e32 v13, 0xbb9c, v20
	v_fma_f16 v35, v45, s5, v14
	v_mul_f16_e32 v15, 0xb8b4, v47
	s_mov_b32 s5, 0xba79
	v_fma_f16 v43, v18, s4, v28
	v_mul_f16_e32 v20, 0x34f2, v20
	v_mul_f16_e32 v26, 0xb4f2, v26
	;; [unrolled: 1-line block ×3, first 2 shown]
	v_fma_f16 v32, v44, s14, v13
	v_fma_f16 v42, v46, s5, v15
	;; [unrolled: 1-line block ×5, first 2 shown]
	v_add_f16_e32 v11, v36, v30
	v_add_f16_e32 v12, v37, v31
	v_add_f16_e32 v13, v17, v32
	v_add_f16_e32 v14, v39, v35
	v_add_f16_e32 v16, v38, v42
	v_add_f16_e32 v15, v40, v34
	v_add_f16_e32 v18, v19, v43
	v_add_f16_e32 v20, v29, v44
	v_add_f16_e32 v26, v33, v45
	v_add_f16_e32 v28, v41, v46
	s_barrier
	s_and_saveexec_b64 s[4:5], s[0:1]
	s_cbranch_execz .LBB0_21
; %bb.20:
	s_mov_b32 s14, 0x5040100
	v_sub_f16_e32 v44, v29, v44
	v_sub_f16_e32 v19, v19, v43
	;; [unrolled: 1-line block ×6, first 2 shown]
	v_lshlrev_b32_e32 v24, 2, v24
	v_perm_b32 v30, v26, v14, s14
	v_perm_b32 v29, v20, v13, s14
	;; [unrolled: 1-line block ×4, first 2 shown]
	v_sub_f16_e32 v41, v41, v46
	v_sub_f16_e32 v33, v33, v45
	v_sub_f16_e32 v38, v38, v42
	v_sub_f16_e32 v35, v39, v35
	ds_write2_b64 v24, v[31:32], v[29:30] offset1:1
	v_perm_b32 v29, v28, v16, s14
	v_pack_b32_f16 v32, v17, v44
	v_pack_b32_f16 v31, v37, v19
	;; [unrolled: 1-line block ×3, first 2 shown]
	ds_write2_b64 v24, v[29:30], v[31:32] offset0:2 offset1:3
	v_pack_b32_f16 v30, v38, v41
	v_pack_b32_f16 v29, v35, v33
	ds_write_b64 v24, v[29:30] offset:32
.LBB0_21:
	s_or_b64 exec, exec, s[4:5]
	s_waitcnt lgkmcnt(0)
	s_barrier
	s_and_saveexec_b64 s[4:5], s[2:3]
	s_cbranch_execz .LBB0_23
; %bb.22:
	v_add_u32_e32 v13, 0x400, v21
	ds_read2_b32 v[11:12], v21 offset1:150
	ds_read2_b32 v[13:14], v13 offset0:44 offset1:194
	ds_read_b32 v16, v21 offset:2400
	s_waitcnt lgkmcnt(2)
	v_lshrrev_b32_e32 v15, 16, v11
	v_lshrrev_b32_e32 v18, 16, v12
	s_waitcnt lgkmcnt(1)
	v_lshrrev_b32_e32 v20, 16, v13
	v_lshrrev_b32_e32 v26, 16, v14
	s_waitcnt lgkmcnt(0)
	v_lshrrev_b32_e32 v28, 16, v16
.LBB0_23:
	s_or_b64 exec, exec, s[4:5]
	v_mul_f16_sdwa v17, v0, v18 dst_sel:DWORD dst_unused:UNUSED_PAD src0_sel:WORD_1 src1_sel:DWORD
	v_fma_f16 v17, v0, v12, v17
	v_mul_f16_sdwa v12, v0, v12 dst_sel:DWORD dst_unused:UNUSED_PAD src0_sel:WORD_1 src1_sel:DWORD
	v_fma_f16 v19, v0, v18, -v12
	v_mul_f16_sdwa v0, v1, v20 dst_sel:DWORD dst_unused:UNUSED_PAD src0_sel:WORD_1 src1_sel:DWORD
	v_mul_f16_sdwa v12, v1, v13 dst_sel:DWORD dst_unused:UNUSED_PAD src0_sel:WORD_1 src1_sel:DWORD
	v_fma_f16 v0, v1, v13, v0
	v_fma_f16 v20, v1, v20, -v12
	v_mul_f16_sdwa v1, v2, v26 dst_sel:DWORD dst_unused:UNUSED_PAD src0_sel:WORD_1 src1_sel:DWORD
	v_fma_f16 v18, v2, v14, v1
	v_mul_f16_sdwa v1, v2, v14 dst_sel:DWORD dst_unused:UNUSED_PAD src0_sel:WORD_1 src1_sel:DWORD
	v_fma_f16 v24, v2, v26, -v1
	v_mul_f16_sdwa v1, v3, v28 dst_sel:DWORD dst_unused:UNUSED_PAD src0_sel:WORD_1 src1_sel:DWORD
	v_fma_f16 v2, v3, v16, v1
	v_mul_f16_sdwa v1, v3, v16 dst_sel:DWORD dst_unused:UNUSED_PAD src0_sel:WORD_1 src1_sel:DWORD
	v_fma_f16 v16, v3, v28, -v1
	v_add_f16_e32 v1, v0, v18
	v_fma_f16 v3, v1, -0.5, v11
	v_sub_f16_e32 v28, v19, v16
	s_movk_i32 s4, 0x3b9c
	v_sub_f16_e32 v1, v17, v0
	v_sub_f16_e32 v12, v2, v18
	;; [unrolled: 1-line block ×3, first 2 shown]
	s_movk_i32 s5, 0x38b4
	v_add_f16_e32 v30, v1, v12
	v_fma_f16 v1, v28, s4, v3
	s_movk_i32 s14, 0x34f2
	v_fma_f16 v1, v29, s5, v1
	v_fma_f16 v12, v30, s14, v1
	v_add_f16_e32 v1, v17, v2
	v_fma_f16 v26, v1, -0.5, v11
	v_sub_f16_e32 v1, v0, v17
	v_sub_f16_e32 v13, v18, v2
	v_add_f16_e32 v32, v1, v13
	v_add_f16_e32 v13, v20, v24
	v_fma_f16 v31, v13, -0.5, v15
	v_sub_f16_e32 v13, v19, v20
	v_sub_f16_e32 v14, v16, v24
	s_mov_b32 s15, 0xbb9c
	v_add_f16_e32 v35, v13, v14
	v_add_f16_e32 v14, v19, v16
	v_fma_f16 v1, v29, s15, v26
	v_sub_f16_e32 v33, v17, v2
	v_sub_f16_e32 v34, v0, v18
	v_fma_f16 v36, v14, -0.5, v15
	v_sub_f16_e32 v14, v20, v19
	v_sub_f16_e32 v37, v24, v16
	v_fma_f16 v1, v28, s5, v1
	v_fma_f16 v13, v33, s15, v31
	s_mov_b32 s5, 0xb8b4
	v_add_f16_e32 v37, v14, v37
	v_fma_f16 v14, v34, s4, v36
	v_fma_f16 v13, v34, s5, v13
	v_fma_f16 v14, v33, s5, v14
	v_fma_f16 v1, v32, s14, v1
	v_fma_f16 v13, v35, s14, v13
	v_fma_f16 v14, v37, s14, v14
	s_barrier
	s_and_saveexec_b64 s[4:5], s[2:3]
	s_cbranch_execz .LBB0_25
; %bb.24:
	v_add_f16_e32 v15, v15, v19
	v_mul_f16_e32 v38, 0x3b9c, v28
	v_mul_f16_e32 v40, 0x3b9c, v33
	v_add_f16_e32 v15, v15, v20
	v_add_f16_e32 v11, v11, v17
	v_mul_f16_e32 v39, 0x38b4, v29
	v_mul_f16_e32 v29, 0x3b9c, v29
	;; [unrolled: 1-line block ×4, first 2 shown]
	v_add_f16_e32 v31, v31, v40
	v_add_f16_e32 v15, v15, v24
	v_sub_f16_e32 v3, v3, v38
	v_add_f16_e32 v0, v11, v0
	v_mul_f16_e32 v30, 0x34f2, v30
	v_mul_f16_e32 v28, 0x38b4, v28
	;; [unrolled: 1-line block ×4, first 2 shown]
	v_sub_f16_e32 v34, v36, v34
	v_add_f16_e32 v31, v41, v31
	v_add_f16_e32 v15, v15, v16
	;; [unrolled: 1-line block ×3, first 2 shown]
	v_sub_f16_e32 v3, v3, v39
	v_add_f16_e32 v0, v0, v18
	v_mul_f16_e32 v32, 0x34f2, v32
	v_mul_f16_e32 v37, 0x34f2, v37
	v_add_f16_e32 v33, v33, v34
	v_add_f16_e32 v31, v35, v31
	v_sub_f16_e32 v16, v16, v28
	v_add_f16_e32 v3, v30, v3
	v_add_f16_e32 v0, v0, v2
	;; [unrolled: 1-line block ×4, first 2 shown]
	v_add_lshl_u32 v2, v25, v23, 2
	v_pack_b32_f16 v0, v0, v15
	v_pack_b32_f16 v3, v3, v31
	s_mov_b32 s14, 0x5040100
	ds_write2_b32 v2, v0, v3 offset1:10
	v_pack_b32_f16 v0, v16, v33
	v_perm_b32 v3, v14, v1, s14
	ds_write2_b32 v2, v0, v3 offset0:20 offset1:30
	v_perm_b32 v0, v13, v12, s14
	ds_write_b32 v2, v0 offset:160
.LBB0_25:
	s_or_b64 exec, exec, s[4:5]
	s_waitcnt lgkmcnt(0)
	s_barrier
	ds_read2_b32 v[15:16], v21 offset1:250
	ds_read_b32 v0, v21 offset:2000
	s_mov_b32 s4, 0xbaee
	s_movk_i32 s5, 0x3aee
	s_waitcnt lgkmcnt(0)
	v_lshrrev_b32_e32 v2, 16, v16
	v_mul_f16_sdwa v17, v9, v2 dst_sel:DWORD dst_unused:UNUSED_PAD src0_sel:WORD_1 src1_sel:DWORD
	v_lshrrev_b32_e32 v3, 16, v0
	v_fma_f16 v17, v9, v16, v17
	v_mul_f16_sdwa v16, v9, v16 dst_sel:DWORD dst_unused:UNUSED_PAD src0_sel:WORD_1 src1_sel:DWORD
	v_fma_f16 v16, v9, v2, -v16
	v_mul_f16_sdwa v2, v10, v3 dst_sel:DWORD dst_unused:UNUSED_PAD src0_sel:WORD_1 src1_sel:DWORD
	v_fma_f16 v18, v10, v0, v2
	v_mul_f16_sdwa v0, v10, v0 dst_sel:DWORD dst_unused:UNUSED_PAD src0_sel:WORD_1 src1_sel:DWORD
	v_fma_f16 v10, v10, v3, -v0
	v_add_f16_e32 v0, v15, v17
	v_add_f16_e32 v2, v0, v18
	;; [unrolled: 1-line block ×3, first 2 shown]
	v_lshrrev_b32_e32 v11, 16, v15
	v_fma_f16 v0, v0, -0.5, v15
	v_sub_f16_e32 v9, v16, v10
	v_fma_f16 v3, v9, s4, v0
	v_fma_f16 v0, v9, s5, v0
	v_add_f16_e32 v9, v11, v16
	v_add_f16_e32 v9, v9, v10
	;; [unrolled: 1-line block ×3, first 2 shown]
	v_fma_f16 v11, v10, -0.5, v11
	v_sub_f16_e32 v15, v17, v18
	v_fma_f16 v10, v15, s5, v11
	v_fma_f16 v11, v15, s4, v11
	v_pack_b32_f16 v15, v2, v9
	v_pack_b32_f16 v16, v3, v10
	s_barrier
	ds_write2_b32 v27, v15, v16 offset1:50
	v_pack_b32_f16 v15, v0, v11
	ds_write_b32 v27, v15 offset:400
	s_waitcnt lgkmcnt(0)
	s_barrier
	s_and_saveexec_b64 s[4:5], s[2:3]
	s_cbranch_execz .LBB0_27
; %bb.26:
	v_add_u32_e32 v0, 0x400, v21
	ds_read2_b32 v[2:3], v21 offset1:150
	ds_read2_b32 v[0:1], v0 offset0:44 offset1:194
	ds_read_b32 v12, v21 offset:2400
	s_waitcnt lgkmcnt(2)
	v_lshrrev_b32_e32 v9, 16, v2
	v_lshrrev_b32_e32 v10, 16, v3
	s_waitcnt lgkmcnt(1)
	v_lshrrev_b32_e32 v11, 16, v0
	v_lshrrev_b32_e32 v14, 16, v1
	s_waitcnt lgkmcnt(0)
	v_lshrrev_b32_e32 v13, 16, v12
.LBB0_27:
	s_or_b64 exec, exec, s[4:5]
	s_and_saveexec_b64 s[4:5], s[2:3]
	s_cbranch_execz .LBB0_29
; %bb.28:
	v_mul_f16_sdwa v15, v5, v0 dst_sel:DWORD dst_unused:UNUSED_PAD src0_sel:WORD_1 src1_sel:DWORD
	v_fma_f16 v15, v5, v11, -v15
	v_mul_f16_sdwa v16, v4, v3 dst_sel:DWORD dst_unused:UNUSED_PAD src0_sel:WORD_1 src1_sel:DWORD
	v_mul_f16_sdwa v19, v7, v12 dst_sel:DWORD dst_unused:UNUSED_PAD src0_sel:WORD_1 src1_sel:DWORD
	;; [unrolled: 1-line block ×3, first 2 shown]
	v_fma_f16 v16, v4, v10, -v16
	v_mul_f16_sdwa v18, v6, v1 dst_sel:DWORD dst_unused:UNUSED_PAD src0_sel:WORD_1 src1_sel:DWORD
	v_fma_f16 v19, v7, v13, -v19
	v_fma_f16 v0, v5, v0, v11
	v_mul_f16_sdwa v5, v6, v14 dst_sel:DWORD dst_unused:UNUSED_PAD src0_sel:WORD_1 src1_sel:DWORD
	v_mul_f16_sdwa v10, v4, v10 dst_sel:DWORD dst_unused:UNUSED_PAD src0_sel:WORD_1 src1_sel:DWORD
	v_fma_f16 v18, v6, v14, -v18
	v_fma_f16 v1, v6, v1, v5
	v_add_f16_e32 v6, v16, v19
	v_fma_f16 v3, v4, v3, v10
	v_mul_f16_sdwa v4, v7, v13 dst_sel:DWORD dst_unused:UNUSED_PAD src0_sel:WORD_1 src1_sel:DWORD
	v_sub_f16_e32 v5, v0, v1
	v_fma_f16 v6, v6, -0.5, v9
	s_movk_i32 s2, 0x3b9c
	v_fma_f16 v4, v7, v12, v4
	v_fma_f16 v11, v5, s2, v6
	v_sub_f16_e32 v7, v3, v4
	s_mov_b32 s3, 0xb8b4
	v_fma_f16 v10, v7, s3, v11
	v_sub_f16_e32 v11, v16, v15
	v_sub_f16_e32 v12, v19, v18
	v_add_f16_e32 v11, v11, v12
	v_add_f16_e32 v12, v15, v18
	v_fma_f16 v6, v5, s15, v6
	v_fma_f16 v12, v12, -0.5, v9
	v_fma_f16 v6, v7, s16, v6
	v_fma_f16 v13, v7, s15, v12
	v_fma_f16 v7, v7, s2, v12
	s_movk_i32 s14, 0x34f2
	v_fma_f16 v13, v5, s3, v13
	v_fma_f16 v5, v5, s16, v7
	v_add_f16_e32 v12, v3, v4
	v_fma_f16 v13, v11, s14, v13
	v_fma_f16 v5, v11, s14, v5
	v_add_f16_e32 v7, v9, v16
	v_sub_f16_e32 v9, v0, v3
	v_sub_f16_e32 v11, v1, v4
	v_fma_f16 v12, v12, -0.5, v2
	v_sub_f16_e32 v14, v15, v18
	v_sub_f16_e32 v17, v15, v16
	v_add_f16_e32 v7, v7, v15
	v_add_f16_e32 v9, v9, v11
	v_sub_f16_e32 v11, v16, v19
	v_fma_f16 v15, v14, s15, v12
	v_fma_f16 v12, v14, s2, v12
	;; [unrolled: 1-line block ×6, first 2 shown]
	v_sub_f16_e32 v12, v3, v0
	v_sub_f16_e32 v16, v4, v1
	;; [unrolled: 1-line block ×3, first 2 shown]
	v_add_f16_e32 v12, v12, v16
	v_add_f16_e32 v16, v0, v1
	;; [unrolled: 1-line block ×3, first 2 shown]
	v_fma_f16 v16, v16, -0.5, v2
	v_add_f16_e32 v2, v2, v3
	v_fma_f16 v10, v17, s14, v10
	v_fma_f16 v6, v17, s14, v6
	;; [unrolled: 1-line block ×4, first 2 shown]
	v_add_f16_e32 v0, v2, v0
	v_add_f16_e32 v7, v7, v18
	v_fma_f16 v11, v14, s3, v11
	v_add_f16_e32 v0, v0, v1
	v_add_f16_e32 v7, v7, v19
	v_fma_f16 v11, v12, s14, v11
	v_add_f16_e32 v0, v0, v4
	v_fma_f16 v17, v14, s16, v17
	v_pack_b32_f16 v0, v0, v7
	v_pack_b32_f16 v1, v11, v5
	v_fma_f16 v17, v12, s14, v17
	ds_write2_b32 v21, v0, v1 offset1:150
	v_pack_b32_f16 v0, v9, v6
	v_pack_b32_f16 v1, v15, v10
	v_add_u32_e32 v2, 0x400, v21
	ds_write2_b32 v2, v0, v1 offset0:44 offset1:194
	v_pack_b32_f16 v0, v17, v13
	ds_write_b32 v21, v0 offset:2400
.LBB0_29:
	s_or_b64 exec, exec, s[4:5]
	s_waitcnt lgkmcnt(0)
	s_barrier
	s_and_b64 exec, exec, s[0:1]
	s_cbranch_execz .LBB0_31
; %bb.30:
	global_load_dword v9, v21, s[6:7]
	global_load_dword v7, v21, s[6:7] offset:300
	ds_read_b32 v15, v21
	v_mad_u64_u32 v[4:5], s[0:1], s10, v8, 0
	v_mad_u64_u32 v[2:3], s[0:1], s8, v22, 0
	v_mov_b32_e32 v6, 0x7c00
	v_mad_u64_u32 v[16:17], s[0:1], s11, v8, v[5:6]
	s_waitcnt lgkmcnt(0)
	v_lshrrev_b32_e32 v5, 16, v15
	v_mad_u64_u32 v[17:18], s[0:1], s9, v22, v[3:4]
	s_mov_b32 s14, 0xc3ece2a5
	s_mov_b32 s15, 0x3f55d867
	s_movk_i32 s18, 0x1ff
	ds_read2_b32 v[0:1], v21 offset0:75 offset1:150
	global_load_dword v10, v21, s[6:7] offset:600
	global_load_dword v11, v21, s[6:7] offset:900
	;; [unrolled: 1-line block ×4, first 2 shown]
	s_movk_i32 s17, 0xffe
	s_movk_i32 s16, 0x40f
	s_mov_b32 s10, 0x8000
	s_waitcnt lgkmcnt(0)
	v_lshrrev_b32_e32 v19, 16, v0
	ds_read_b32 v12, v21 offset:2700
	s_waitcnt vmcnt(5)
	v_mul_f16_sdwa v3, v5, v9 dst_sel:DWORD dst_unused:UNUSED_PAD src0_sel:DWORD src1_sel:WORD_1
	v_fma_f16 v3, v15, v9, v3
	v_mul_f16_sdwa v8, v15, v9 dst_sel:DWORD dst_unused:UNUSED_PAD src0_sel:DWORD src1_sel:WORD_1
	v_cvt_f32_f16_e32 v3, v3
	v_fma_f16 v5, v9, v5, -v8
	v_cvt_f32_f16_e32 v15, v5
	v_mov_b32_e32 v5, v16
	v_cvt_f64_f32_e32 v[8:9], v3
	s_waitcnt vmcnt(4)
	v_mul_f16_sdwa v3, v19, v7 dst_sel:DWORD dst_unused:UNUSED_PAD src0_sel:DWORD src1_sel:WORD_1
	v_cvt_f64_f32_e32 v[15:16], v15
	v_fma_f16 v3, v0, v7, v3
	v_mul_f64 v[8:9], v[8:9], s[14:15]
	v_cvt_f32_f16_e32 v18, v3
	v_mul_f64 v[15:16], v[15:16], s[14:15]
	v_mov_b32_e32 v3, v17
	v_lshlrev_b64 v[4:5], 2, v[4:5]
	v_cvt_f64_f32_e32 v[17:18], v18
	v_lshlrev_b64 v[2:3], 2, v[2:3]
	v_mul_f16_sdwa v0, v0, v7 dst_sel:DWORD dst_unused:UNUSED_PAD src0_sel:DWORD src1_sel:WORD_1
	v_and_or_b32 v8, v9, s18, v8
	v_cmp_ne_u32_e32 vcc, 0, v8
	v_and_or_b32 v15, v16, s18, v15
	v_lshrrev_b32_e32 v20, 8, v9
	v_bfe_u32 v22, v9, 20, 11
	v_cndmask_b32_e64 v8, 0, 1, vcc
	v_cmp_ne_u32_e32 vcc, 0, v15
	v_lshrrev_b32_e32 v23, 8, v16
	v_bfe_u32 v24, v16, 20, 11
	v_sub_u32_e32 v25, 0x3f1, v22
	v_cndmask_b32_e64 v15, 0, 1, vcc
	v_and_or_b32 v8, v20, s17, v8
	v_sub_u32_e32 v26, 0x3f1, v24
	v_med3_i32 v20, v25, 0, 13
	v_and_or_b32 v15, v23, s17, v15
	v_or_b32_e32 v25, 0x1000, v8
	v_add_u32_e32 v22, 0xfffffc10, v22
	v_med3_i32 v23, v26, 0, 13
	v_cmp_ne_u32_e32 vcc, 0, v8
	v_or_b32_e32 v27, 0x1000, v15
	v_lshrrev_b32_e32 v29, v20, v25
	v_add_u32_e32 v24, 0xfffffc10, v24
	v_lshl_or_b32 v26, v22, 12, v8
	v_cndmask_b32_e64 v8, 0, 1, vcc
	v_cmp_ne_u32_e32 vcc, 0, v15
	v_lshrrev_b32_e32 v30, v23, v27
	v_lshlrev_b32_e32 v20, v20, v29
	v_lshl_or_b32 v28, v24, 12, v15
	v_cndmask_b32_e64 v15, 0, 1, vcc
	v_lshlrev_b32_e32 v23, v23, v30
	v_cmp_ne_u32_e32 vcc, v20, v25
	v_cndmask_b32_e64 v20, 0, 1, vcc
	v_cmp_ne_u32_e32 vcc, v23, v27
	v_cndmask_b32_e64 v23, 0, 1, vcc
	v_or_b32_e32 v20, v29, v20
	v_cmp_gt_i32_e32 vcc, 1, v22
	v_cndmask_b32_e32 v20, v26, v20, vcc
	v_or_b32_e32 v23, v30, v23
	v_cmp_gt_i32_e32 vcc, 1, v24
	v_and_b32_e32 v25, 7, v20
	v_cndmask_b32_e32 v23, v28, v23, vcc
	v_cmp_lt_i32_e32 vcc, 5, v25
	v_cmp_eq_u32_e64 s[0:1], 3, v25
	v_lshrrev_b32_e32 v20, 2, v20
	v_and_b32_e32 v26, 7, v23
	s_or_b64 vcc, s[0:1], vcc
	v_cmp_lt_i32_e64 s[2:3], 5, v26
	v_cmp_eq_u32_e64 s[4:5], 3, v26
	v_addc_co_u32_e32 v20, vcc, 0, v20, vcc
	v_lshrrev_b32_e32 v23, 2, v23
	s_or_b64 vcc, s[4:5], s[2:3]
	v_addc_co_u32_e32 v23, vcc, 0, v23, vcc
	v_cmp_gt_i32_e32 vcc, 31, v22
	v_cndmask_b32_e32 v20, v6, v20, vcc
	v_cmp_gt_i32_e32 vcc, 31, v24
	v_lshl_or_b32 v8, v8, 9, v6
	v_cndmask_b32_e32 v23, v6, v23, vcc
	v_cmp_eq_u32_e32 vcc, s16, v22
	v_lshrrev_b32_e32 v9, 16, v9
	v_lshl_or_b32 v15, v15, 9, v6
	v_cndmask_b32_e32 v8, v20, v8, vcc
	v_cmp_eq_u32_e32 vcc, s16, v24
	v_lshrrev_b32_e32 v16, 16, v16
	v_cndmask_b32_e32 v15, v23, v15, vcc
	v_and_or_b32 v8, v9, s10, v8
	v_and_or_b32 v9, v16, s10, v15
	v_and_b32_e32 v8, 0xffff, v8
	v_lshl_or_b32 v15, v9, 16, v8
	v_mul_f64 v[8:9], v[17:18], s[14:15]
	v_mov_b32_e32 v16, s13
	v_add_co_u32_e32 v4, vcc, s12, v4
	v_addc_co_u32_e32 v5, vcc, v16, v5, vcc
	v_add_co_u32_e32 v2, vcc, v4, v2
	v_addc_co_u32_e32 v3, vcc, v5, v3, vcc
	v_and_or_b32 v4, v9, s18, v8
	v_cmp_ne_u32_e32 vcc, 0, v4
	v_cndmask_b32_e64 v4, 0, 1, vcc
	v_lshrrev_b32_e32 v5, 8, v9
	v_and_or_b32 v8, v5, s17, v4
	v_bfe_u32 v5, v9, 20, 11
	global_store_dword v[2:3], v15, off
	v_sub_u32_e32 v15, 0x3f1, v5
	v_or_b32_e32 v4, 0x1000, v8
	v_med3_i32 v15, v15, 0, 13
	v_lshrrev_b32_e32 v16, v15, v4
	v_lshlrev_b32_e32 v15, v15, v16
	v_cmp_ne_u32_e32 vcc, v15, v4
	v_fma_f16 v0, v7, v19, -v0
	v_cndmask_b32_e64 v4, 0, 1, vcc
	v_add_u32_e32 v15, 0xfffffc10, v5
	v_cvt_f32_f16_e32 v0, v0
	v_or_b32_e32 v4, v16, v4
	v_lshl_or_b32 v5, v15, 12, v8
	v_cmp_gt_i32_e32 vcc, 1, v15
	v_cndmask_b32_e32 v4, v5, v4, vcc
	v_and_b32_e32 v5, 7, v4
	v_cmp_lt_i32_e32 vcc, 5, v5
	v_cmp_eq_u32_e64 s[0:1], 3, v5
	v_lshrrev_b32_e32 v7, 2, v4
	v_cvt_f64_f32_e32 v[4:5], v0
	s_or_b64 vcc, s[0:1], vcc
	v_addc_co_u32_e32 v0, vcc, 0, v7, vcc
	v_mul_f64 v[4:5], v[4:5], s[14:15]
	v_cmp_gt_i32_e32 vcc, 31, v15
	v_cndmask_b32_e32 v0, v6, v0, vcc
	v_cmp_ne_u32_e32 vcc, 0, v8
	v_cndmask_b32_e64 v7, 0, 1, vcc
	v_lshl_or_b32 v7, v7, 9, v6
	v_cmp_eq_u32_e32 vcc, s16, v15
	v_cndmask_b32_e32 v0, v0, v7, vcc
	v_and_or_b32 v4, v5, s18, v4
	v_lshrrev_b32_e32 v7, 16, v9
	v_cmp_ne_u32_e32 vcc, 0, v4
	v_and_or_b32 v0, v7, s10, v0
	v_cndmask_b32_e64 v4, 0, 1, vcc
	v_lshrrev_b32_e32 v7, 8, v5
	v_bfe_u32 v8, v5, 20, 11
	v_and_or_b32 v4, v7, s17, v4
	v_sub_u32_e32 v9, 0x3f1, v8
	v_or_b32_e32 v7, 0x1000, v4
	v_med3_i32 v9, v9, 0, 13
	v_lshrrev_b32_e32 v15, v9, v7
	v_lshlrev_b32_e32 v9, v9, v15
	v_cmp_ne_u32_e32 vcc, v9, v7
	v_cndmask_b32_e64 v7, 0, 1, vcc
	v_add_u32_e32 v8, 0xfffffc10, v8
	v_or_b32_e32 v7, v15, v7
	v_lshl_or_b32 v9, v8, 12, v4
	v_cmp_gt_i32_e32 vcc, 1, v8
	v_cndmask_b32_e32 v7, v9, v7, vcc
	v_and_b32_e32 v9, 7, v7
	v_cmp_lt_i32_e32 vcc, 5, v9
	v_cmp_eq_u32_e64 s[0:1], 3, v9
	v_lshrrev_b32_e32 v7, 2, v7
	s_or_b64 vcc, s[0:1], vcc
	v_addc_co_u32_e32 v7, vcc, 0, v7, vcc
	v_cmp_gt_i32_e32 vcc, 31, v8
	v_cndmask_b32_e32 v7, v6, v7, vcc
	v_cmp_ne_u32_e32 vcc, 0, v4
	v_cndmask_b32_e64 v4, 0, 1, vcc
	v_lshl_or_b32 v4, v4, 9, v6
	v_cmp_eq_u32_e32 vcc, s16, v8
	v_cndmask_b32_e32 v4, v7, v4, vcc
	v_lshrrev_b32_e32 v7, 16, v1
	s_waitcnt vmcnt(4)
	v_mul_f16_sdwa v8, v7, v10 dst_sel:DWORD dst_unused:UNUSED_PAD src0_sel:DWORD src1_sel:WORD_1
	v_fma_f16 v8, v1, v10, v8
	v_cvt_f32_f16_e32 v8, v8
	v_lshrrev_b32_e32 v5, 16, v5
	v_and_or_b32 v4, v5, s10, v4
	v_and_b32_e32 v0, 0xffff, v0
	v_lshl_or_b32 v0, v4, 16, v0
	v_cvt_f64_f32_e32 v[4:5], v8
	s_mul_i32 s0, s9, 0x12c
	s_mul_hi_u32 s2, s8, 0x12c
	s_add_i32 s2, s2, s0
	v_mul_f64 v[4:5], v[4:5], s[14:15]
	s_mul_i32 s3, s8, 0x12c
	v_mov_b32_e32 v8, s2
	v_add_co_u32_e32 v2, vcc, s3, v2
	v_addc_co_u32_e32 v3, vcc, v3, v8, vcc
	global_store_dword v[2:3], v0, off
	v_and_or_b32 v0, v5, s18, v4
	v_cmp_ne_u32_e32 vcc, 0, v0
	v_cndmask_b32_e64 v0, 0, 1, vcc
	v_lshrrev_b32_e32 v4, 8, v5
	v_bfe_u32 v8, v5, 20, 11
	v_and_or_b32 v4, v4, s17, v0
	v_sub_u32_e32 v9, 0x3f1, v8
	v_or_b32_e32 v0, 0x1000, v4
	v_med3_i32 v9, v9, 0, 13
	v_lshrrev_b32_e32 v15, v9, v0
	v_mul_f16_sdwa v1, v1, v10 dst_sel:DWORD dst_unused:UNUSED_PAD src0_sel:DWORD src1_sel:WORD_1
	v_lshlrev_b32_e32 v9, v9, v15
	v_fma_f16 v1, v10, v7, -v1
	v_cmp_ne_u32_e32 vcc, v9, v0
	v_cvt_f32_f16_e32 v1, v1
	v_cndmask_b32_e64 v0, 0, 1, vcc
	v_add_u32_e32 v8, 0xfffffc10, v8
	v_or_b32_e32 v0, v15, v0
	v_lshl_or_b32 v9, v8, 12, v4
	v_cmp_gt_i32_e32 vcc, 1, v8
	v_cndmask_b32_e32 v0, v9, v0, vcc
	v_and_b32_e32 v9, 7, v0
	v_lshrrev_b32_e32 v7, 2, v0
	v_cvt_f64_f32_e32 v[0:1], v1
	v_cmp_lt_i32_e32 vcc, 5, v9
	v_cmp_eq_u32_e64 s[0:1], 3, v9
	s_or_b64 vcc, s[0:1], vcc
	v_mul_f64 v[0:1], v[0:1], s[14:15]
	v_addc_co_u32_e32 v7, vcc, 0, v7, vcc
	v_cmp_gt_i32_e32 vcc, 31, v8
	v_cndmask_b32_e32 v7, v6, v7, vcc
	v_cmp_ne_u32_e32 vcc, 0, v4
	v_cndmask_b32_e64 v4, 0, 1, vcc
	v_lshl_or_b32 v4, v4, 9, v6
	v_cmp_eq_u32_e32 vcc, s16, v8
	v_and_or_b32 v0, v1, s18, v0
	v_cndmask_b32_e32 v4, v7, v4, vcc
	v_lshrrev_b32_e32 v5, 16, v5
	v_cmp_ne_u32_e32 vcc, 0, v0
	v_and_or_b32 v9, v5, s10, v4
	v_cndmask_b32_e64 v0, 0, 1, vcc
	v_lshrrev_b32_e32 v4, 8, v1
	v_bfe_u32 v5, v1, 20, 11
	v_and_or_b32 v0, v4, s17, v0
	v_sub_u32_e32 v7, 0x3f1, v5
	v_or_b32_e32 v4, 0x1000, v0
	v_med3_i32 v7, v7, 0, 13
	v_lshrrev_b32_e32 v8, v7, v4
	v_lshlrev_b32_e32 v7, v7, v8
	v_cmp_ne_u32_e32 vcc, v7, v4
	v_cndmask_b32_e64 v4, 0, 1, vcc
	v_add_u32_e32 v7, 0xfffffc10, v5
	v_or_b32_e32 v4, v8, v4
	v_lshl_or_b32 v5, v7, 12, v0
	v_cmp_gt_i32_e32 vcc, 1, v7
	v_cndmask_b32_e32 v4, v5, v4, vcc
	v_and_b32_e32 v5, 7, v4
	v_cmp_lt_i32_e32 vcc, 5, v5
	v_cmp_eq_u32_e64 s[0:1], 3, v5
	v_lshrrev_b32_e32 v4, 2, v4
	s_or_b64 vcc, s[0:1], vcc
	v_addc_co_u32_e32 v8, vcc, 0, v4, vcc
	v_add_u32_e32 v4, 0x200, v21
	ds_read2_b32 v[4:5], v4 offset0:97 offset1:172
	v_cmp_gt_i32_e32 vcc, 31, v7
	v_cndmask_b32_e32 v8, v6, v8, vcc
	v_cmp_ne_u32_e32 vcc, 0, v0
	v_cndmask_b32_e64 v0, 0, 1, vcc
	s_waitcnt lgkmcnt(0)
	v_lshrrev_b32_e32 v10, 16, v4
	s_waitcnt vmcnt(4)
	v_mul_f16_sdwa v15, v10, v11 dst_sel:DWORD dst_unused:UNUSED_PAD src0_sel:DWORD src1_sel:WORD_1
	v_fma_f16 v15, v4, v11, v15
	v_cvt_f32_f16_e32 v15, v15
	v_lshl_or_b32 v0, v0, 9, v6
	v_cmp_eq_u32_e32 vcc, s16, v7
	v_cndmask_b32_e32 v0, v8, v0, vcc
	v_cvt_f64_f32_e32 v[7:8], v15
	v_lshrrev_b32_e32 v1, 16, v1
	v_and_or_b32 v15, v1, s10, v0
	v_add_co_u32_e32 v2, vcc, s3, v2
	v_mul_f64 v[0:1], v[7:8], s[14:15]
	v_mov_b32_e32 v8, s2
	v_and_b32_e32 v9, 0xffff, v9
	v_addc_co_u32_e32 v3, vcc, v3, v8, vcc
	v_lshl_or_b32 v7, v15, 16, v9
	global_store_dword v[2:3], v7, off
	v_mul_f16_sdwa v4, v4, v11 dst_sel:DWORD dst_unused:UNUSED_PAD src0_sel:DWORD src1_sel:WORD_1
	v_and_or_b32 v0, v1, s18, v0
	v_cmp_ne_u32_e32 vcc, 0, v0
	v_cndmask_b32_e64 v0, 0, 1, vcc
	v_lshrrev_b32_e32 v7, 8, v1
	v_bfe_u32 v8, v1, 20, 11
	v_and_or_b32 v0, v7, s17, v0
	v_sub_u32_e32 v9, 0x3f1, v8
	v_or_b32_e32 v7, 0x1000, v0
	v_med3_i32 v9, v9, 0, 13
	v_lshrrev_b32_e32 v15, v9, v7
	v_lshlrev_b32_e32 v9, v9, v15
	v_cmp_ne_u32_e32 vcc, v9, v7
	v_fma_f16 v4, v11, v10, -v4
	v_cndmask_b32_e64 v7, 0, 1, vcc
	v_add_u32_e32 v9, 0xfffffc10, v8
	v_cvt_f32_f16_e32 v4, v4
	v_or_b32_e32 v7, v15, v7
	v_lshl_or_b32 v8, v9, 12, v0
	v_cmp_gt_i32_e32 vcc, 1, v9
	v_cndmask_b32_e32 v7, v8, v7, vcc
	v_and_b32_e32 v8, 7, v7
	v_cmp_lt_i32_e32 vcc, 5, v8
	v_cmp_eq_u32_e64 s[0:1], 3, v8
	v_lshrrev_b32_e32 v10, 2, v7
	v_cvt_f64_f32_e32 v[7:8], v4
	s_or_b64 vcc, s[0:1], vcc
	v_addc_co_u32_e32 v4, vcc, 0, v10, vcc
	v_mul_f64 v[7:8], v[7:8], s[14:15]
	v_cmp_gt_i32_e32 vcc, 31, v9
	v_cndmask_b32_e32 v4, v6, v4, vcc
	v_cmp_ne_u32_e32 vcc, 0, v0
	v_cndmask_b32_e64 v0, 0, 1, vcc
	v_lshl_or_b32 v0, v0, 9, v6
	v_cmp_eq_u32_e32 vcc, s16, v9
	v_cndmask_b32_e32 v0, v4, v0, vcc
	v_lshrrev_b32_e32 v1, 16, v1
	v_and_or_b32 v4, v1, s10, v0
	v_and_or_b32 v0, v8, s18, v7
	v_cmp_ne_u32_e32 vcc, 0, v0
	v_cndmask_b32_e64 v0, 0, 1, vcc
	v_lshrrev_b32_e32 v1, 8, v8
	v_bfe_u32 v7, v8, 20, 11
	v_and_or_b32 v0, v1, s17, v0
	v_sub_u32_e32 v9, 0x3f1, v7
	v_or_b32_e32 v1, 0x1000, v0
	v_med3_i32 v9, v9, 0, 13
	v_lshrrev_b32_e32 v10, v9, v1
	v_lshlrev_b32_e32 v9, v9, v10
	v_cmp_ne_u32_e32 vcc, v9, v1
	v_cndmask_b32_e64 v1, 0, 1, vcc
	v_add_u32_e32 v7, 0xfffffc10, v7
	v_or_b32_e32 v1, v10, v1
	v_lshl_or_b32 v9, v7, 12, v0
	v_cmp_gt_i32_e32 vcc, 1, v7
	v_cndmask_b32_e32 v1, v9, v1, vcc
	v_and_b32_e32 v9, 7, v1
	v_cmp_lt_i32_e32 vcc, 5, v9
	v_cmp_eq_u32_e64 s[0:1], 3, v9
	v_lshrrev_b32_e32 v9, 16, v5
	v_lshrrev_b32_e32 v1, 2, v1
	s_or_b64 vcc, s[0:1], vcc
	s_waitcnt vmcnt(4)
	v_mul_f16_sdwa v10, v9, v13 dst_sel:DWORD dst_unused:UNUSED_PAD src0_sel:DWORD src1_sel:WORD_1
	v_addc_co_u32_e32 v1, vcc, 0, v1, vcc
	v_fma_f16 v10, v5, v13, v10
	v_cmp_gt_i32_e32 vcc, 31, v7
	v_cvt_f32_f16_e32 v10, v10
	v_cndmask_b32_e32 v1, v6, v1, vcc
	v_cmp_ne_u32_e32 vcc, 0, v0
	v_cndmask_b32_e64 v0, 0, 1, vcc
	v_lshl_or_b32 v0, v0, 9, v6
	v_cmp_eq_u32_e32 vcc, s16, v7
	v_cndmask_b32_e32 v7, v1, v0, vcc
	v_cvt_f64_f32_e32 v[0:1], v10
	v_lshrrev_b32_e32 v8, 16, v8
	v_and_or_b32 v7, v8, s10, v7
	v_and_b32_e32 v4, 0xffff, v4
	v_mul_f64 v[0:1], v[0:1], s[14:15]
	v_lshl_or_b32 v4, v7, 16, v4
	v_mov_b32_e32 v7, s2
	v_add_co_u32_e32 v2, vcc, s3, v2
	v_addc_co_u32_e32 v3, vcc, v3, v7, vcc
	global_store_dword v[2:3], v4, off
	v_and_or_b32 v0, v1, s18, v0
	v_cmp_ne_u32_e32 vcc, 0, v0
	v_cndmask_b32_e64 v0, 0, 1, vcc
	v_lshrrev_b32_e32 v4, 8, v1
	v_bfe_u32 v7, v1, 20, 11
	v_and_or_b32 v0, v4, s17, v0
	v_sub_u32_e32 v8, 0x3f1, v7
	v_or_b32_e32 v4, 0x1000, v0
	v_med3_i32 v8, v8, 0, 13
	v_lshrrev_b32_e32 v10, v8, v4
	v_lshlrev_b32_e32 v8, v8, v10
	v_mul_f16_sdwa v5, v5, v13 dst_sel:DWORD dst_unused:UNUSED_PAD src0_sel:DWORD src1_sel:WORD_1
	v_cmp_ne_u32_e32 vcc, v8, v4
	v_fma_f16 v5, v13, v9, -v5
	global_load_dword v13, v21, s[6:7] offset:1800
	v_cndmask_b32_e64 v4, 0, 1, vcc
	v_add_u32_e32 v7, 0xfffffc10, v7
	v_cvt_f32_f16_e32 v5, v5
	v_or_b32_e32 v4, v10, v4
	v_lshl_or_b32 v8, v7, 12, v0
	v_cmp_gt_i32_e32 vcc, 1, v7
	v_cndmask_b32_e32 v4, v8, v4, vcc
	v_and_b32_e32 v8, 7, v4
	v_cmp_lt_i32_e32 vcc, 5, v8
	v_cmp_eq_u32_e64 s[0:1], 3, v8
	v_lshrrev_b32_e32 v8, 2, v4
	v_cvt_f64_f32_e32 v[4:5], v5
	s_or_b64 vcc, s[0:1], vcc
	v_addc_co_u32_e32 v8, vcc, 0, v8, vcc
	v_mul_f64 v[4:5], v[4:5], s[14:15]
	v_cmp_gt_i32_e32 vcc, 31, v7
	v_cndmask_b32_e32 v8, v6, v8, vcc
	v_cmp_ne_u32_e32 vcc, 0, v0
	v_cndmask_b32_e64 v0, 0, 1, vcc
	v_lshl_or_b32 v0, v0, 9, v6
	v_cmp_eq_u32_e32 vcc, s16, v7
	v_cndmask_b32_e32 v0, v8, v0, vcc
	v_lshrrev_b32_e32 v1, 16, v1
	v_and_or_b32 v9, v1, s10, v0
	v_and_or_b32 v0, v5, s18, v4
	v_cmp_ne_u32_e32 vcc, 0, v0
	v_cndmask_b32_e64 v0, 0, 1, vcc
	v_lshrrev_b32_e32 v1, 8, v5
	v_and_or_b32 v4, v1, s17, v0
	v_bfe_u32 v1, v5, 20, 11
	v_sub_u32_e32 v7, 0x3f1, v1
	v_or_b32_e32 v0, 0x1000, v4
	v_med3_i32 v7, v7, 0, 13
	v_lshrrev_b32_e32 v8, v7, v0
	v_lshlrev_b32_e32 v7, v7, v8
	v_cmp_ne_u32_e32 vcc, v7, v0
	v_cndmask_b32_e64 v0, 0, 1, vcc
	v_add_u32_e32 v7, 0xfffffc10, v1
	v_or_b32_e32 v0, v8, v0
	v_lshl_or_b32 v1, v7, 12, v4
	v_cmp_gt_i32_e32 vcc, 1, v7
	v_cndmask_b32_e32 v0, v1, v0, vcc
	v_and_b32_e32 v1, 7, v0
	v_cmp_lt_i32_e32 vcc, 5, v1
	v_cmp_eq_u32_e64 s[0:1], 3, v1
	v_lshrrev_b32_e32 v0, 2, v0
	s_or_b64 vcc, s[0:1], vcc
	v_addc_co_u32_e32 v8, vcc, 0, v0, vcc
	v_add_u32_e32 v0, 0x400, v21
	ds_read2_b32 v[0:1], v0 offset0:119 offset1:194
	v_cmp_gt_i32_e32 vcc, 31, v7
	v_cndmask_b32_e32 v8, v6, v8, vcc
	v_cmp_ne_u32_e32 vcc, 0, v4
	v_cndmask_b32_e64 v4, 0, 1, vcc
	s_waitcnt lgkmcnt(0)
	v_lshrrev_b32_e32 v10, 16, v0
	s_waitcnt vmcnt(5)
	v_mul_f16_sdwa v11, v10, v14 dst_sel:DWORD dst_unused:UNUSED_PAD src0_sel:DWORD src1_sel:WORD_1
	v_fma_f16 v11, v0, v14, v11
	v_cvt_f32_f16_e32 v11, v11
	v_lshl_or_b32 v4, v4, 9, v6
	v_cmp_eq_u32_e32 vcc, s16, v7
	v_cndmask_b32_e32 v4, v8, v4, vcc
	v_cvt_f64_f32_e32 v[7:8], v11
	v_lshrrev_b32_e32 v5, 16, v5
	v_and_or_b32 v11, v5, s10, v4
	v_add_co_u32_e32 v2, vcc, s3, v2
	v_mul_f64 v[4:5], v[7:8], s[14:15]
	v_mov_b32_e32 v8, s2
	v_and_b32_e32 v9, 0xffff, v9
	v_addc_co_u32_e32 v3, vcc, v3, v8, vcc
	v_lshl_or_b32 v7, v11, 16, v9
	global_store_dword v[2:3], v7, off
	v_mul_f16_sdwa v0, v0, v14 dst_sel:DWORD dst_unused:UNUSED_PAD src0_sel:DWORD src1_sel:WORD_1
	v_and_or_b32 v4, v5, s18, v4
	v_cmp_ne_u32_e32 vcc, 0, v4
	v_cndmask_b32_e64 v4, 0, 1, vcc
	v_lshrrev_b32_e32 v7, 8, v5
	v_bfe_u32 v8, v5, 20, 11
	v_and_or_b32 v4, v7, s17, v4
	v_sub_u32_e32 v9, 0x3f1, v8
	v_or_b32_e32 v7, 0x1000, v4
	v_med3_i32 v9, v9, 0, 13
	v_lshrrev_b32_e32 v11, v9, v7
	v_lshlrev_b32_e32 v9, v9, v11
	v_cmp_ne_u32_e32 vcc, v9, v7
	v_fma_f16 v0, v14, v10, -v0
	v_cndmask_b32_e64 v7, 0, 1, vcc
	v_add_u32_e32 v9, 0xfffffc10, v8
	v_cvt_f32_f16_e32 v0, v0
	v_or_b32_e32 v7, v11, v7
	v_lshl_or_b32 v8, v9, 12, v4
	v_cmp_gt_i32_e32 vcc, 1, v9
	v_cndmask_b32_e32 v7, v8, v7, vcc
	v_and_b32_e32 v8, 7, v7
	v_cmp_lt_i32_e32 vcc, 5, v8
	v_cmp_eq_u32_e64 s[0:1], 3, v8
	v_lshrrev_b32_e32 v10, 2, v7
	v_cvt_f64_f32_e32 v[7:8], v0
	s_or_b64 vcc, s[0:1], vcc
	v_addc_co_u32_e32 v0, vcc, 0, v10, vcc
	v_mul_f64 v[7:8], v[7:8], s[14:15]
	v_cmp_gt_i32_e32 vcc, 31, v9
	v_cndmask_b32_e32 v0, v6, v0, vcc
	v_cmp_ne_u32_e32 vcc, 0, v4
	v_cndmask_b32_e64 v4, 0, 1, vcc
	v_lshl_or_b32 v4, v4, 9, v6
	v_cmp_eq_u32_e32 vcc, s16, v9
	v_cndmask_b32_e32 v0, v0, v4, vcc
	v_lshrrev_b32_e32 v4, 16, v5
	v_and_or_b32 v0, v4, s10, v0
	v_and_or_b32 v4, v8, s18, v7
	v_cmp_ne_u32_e32 vcc, 0, v4
	v_cndmask_b32_e64 v4, 0, 1, vcc
	v_lshrrev_b32_e32 v5, 8, v8
	v_bfe_u32 v7, v8, 20, 11
	v_and_or_b32 v4, v5, s17, v4
	v_sub_u32_e32 v9, 0x3f1, v7
	v_or_b32_e32 v5, 0x1000, v4
	v_med3_i32 v9, v9, 0, 13
	v_lshrrev_b32_e32 v10, v9, v5
	v_lshlrev_b32_e32 v9, v9, v10
	v_cmp_ne_u32_e32 vcc, v9, v5
	v_cndmask_b32_e64 v5, 0, 1, vcc
	v_or_b32_e32 v5, v10, v5
	global_load_dword v10, v21, s[6:7] offset:2100
	global_load_dword v11, v21, s[6:7] offset:2400
	;; [unrolled: 1-line block ×3, first 2 shown]
	v_add_u32_e32 v7, 0xfffffc10, v7
	v_lshl_or_b32 v9, v7, 12, v4
	v_cmp_gt_i32_e32 vcc, 1, v7
	v_cndmask_b32_e32 v5, v9, v5, vcc
	v_and_b32_e32 v9, 7, v5
	v_cmp_lt_i32_e32 vcc, 5, v9
	v_cmp_eq_u32_e64 s[0:1], 3, v9
	v_lshrrev_b32_e32 v9, 16, v1
	v_lshrrev_b32_e32 v5, 2, v5
	s_or_b64 vcc, s[0:1], vcc
	s_waitcnt vmcnt(4)
	v_mul_f16_sdwa v15, v9, v13 dst_sel:DWORD dst_unused:UNUSED_PAD src0_sel:DWORD src1_sel:WORD_1
	v_addc_co_u32_e32 v5, vcc, 0, v5, vcc
	v_fma_f16 v15, v1, v13, v15
	v_cmp_gt_i32_e32 vcc, 31, v7
	v_cvt_f32_f16_e32 v15, v15
	v_cndmask_b32_e32 v5, v6, v5, vcc
	v_cmp_ne_u32_e32 vcc, 0, v4
	v_cndmask_b32_e64 v4, 0, 1, vcc
	v_lshl_or_b32 v4, v4, 9, v6
	v_cmp_eq_u32_e32 vcc, s16, v7
	v_cndmask_b32_e32 v7, v5, v4, vcc
	v_cvt_f64_f32_e32 v[4:5], v15
	v_lshrrev_b32_e32 v8, 16, v8
	v_and_or_b32 v7, v8, s10, v7
	v_and_b32_e32 v0, 0xffff, v0
	v_mul_f64 v[4:5], v[4:5], s[14:15]
	v_lshl_or_b32 v0, v7, 16, v0
	v_mov_b32_e32 v7, s2
	v_add_co_u32_e32 v2, vcc, s3, v2
	v_addc_co_u32_e32 v3, vcc, v3, v7, vcc
	global_store_dword v[2:3], v0, off
	v_and_or_b32 v0, v5, s18, v4
	v_cmp_ne_u32_e32 vcc, 0, v0
	v_cndmask_b32_e64 v0, 0, 1, vcc
	v_lshrrev_b32_e32 v4, 8, v5
	v_bfe_u32 v7, v5, 20, 11
	v_and_or_b32 v4, v4, s17, v0
	v_sub_u32_e32 v8, 0x3f1, v7
	v_or_b32_e32 v0, 0x1000, v4
	v_med3_i32 v8, v8, 0, 13
	v_lshrrev_b32_e32 v15, v8, v0
	v_lshlrev_b32_e32 v8, v8, v15
	v_mul_f16_sdwa v1, v1, v13 dst_sel:DWORD dst_unused:UNUSED_PAD src0_sel:DWORD src1_sel:WORD_1
	v_cmp_ne_u32_e32 vcc, v8, v0
	v_fma_f16 v1, v13, v9, -v1
	v_cndmask_b32_e64 v0, 0, 1, vcc
	v_add_u32_e32 v7, 0xfffffc10, v7
	v_cvt_f32_f16_e32 v1, v1
	v_or_b32_e32 v0, v15, v0
	v_lshl_or_b32 v8, v7, 12, v4
	v_cmp_gt_i32_e32 vcc, 1, v7
	v_cndmask_b32_e32 v0, v8, v0, vcc
	v_and_b32_e32 v8, 7, v0
	v_cmp_lt_i32_e32 vcc, 5, v8
	v_cmp_eq_u32_e64 s[0:1], 3, v8
	v_lshrrev_b32_e32 v8, 2, v0
	v_cvt_f64_f32_e32 v[0:1], v1
	s_or_b64 vcc, s[0:1], vcc
	v_addc_co_u32_e32 v8, vcc, 0, v8, vcc
	v_mul_f64 v[0:1], v[0:1], s[14:15]
	v_cmp_gt_i32_e32 vcc, 31, v7
	v_cndmask_b32_e32 v8, v6, v8, vcc
	v_cmp_ne_u32_e32 vcc, 0, v4
	v_cndmask_b32_e64 v4, 0, 1, vcc
	v_lshl_or_b32 v4, v4, 9, v6
	v_cmp_eq_u32_e32 vcc, s16, v7
	v_cndmask_b32_e32 v4, v8, v4, vcc
	v_and_or_b32 v0, v1, s18, v0
	v_lshrrev_b32_e32 v5, 16, v5
	v_cmp_ne_u32_e32 vcc, 0, v0
	v_and_or_b32 v9, v5, s10, v4
	v_cndmask_b32_e64 v0, 0, 1, vcc
	v_lshrrev_b32_e32 v4, 8, v1
	v_bfe_u32 v5, v1, 20, 11
	v_and_or_b32 v0, v4, s17, v0
	v_sub_u32_e32 v7, 0x3f1, v5
	v_or_b32_e32 v4, 0x1000, v0
	v_med3_i32 v7, v7, 0, 13
	v_lshrrev_b32_e32 v8, v7, v4
	v_lshlrev_b32_e32 v7, v7, v8
	v_cmp_ne_u32_e32 vcc, v7, v4
	v_cndmask_b32_e64 v4, 0, 1, vcc
	v_add_u32_e32 v7, 0xfffffc10, v5
	v_or_b32_e32 v4, v8, v4
	v_lshl_or_b32 v5, v7, 12, v0
	v_cmp_gt_i32_e32 vcc, 1, v7
	v_cndmask_b32_e32 v4, v5, v4, vcc
	v_and_b32_e32 v5, 7, v4
	v_cmp_lt_i32_e32 vcc, 5, v5
	v_cmp_eq_u32_e64 s[0:1], 3, v5
	v_lshrrev_b32_e32 v4, 2, v4
	s_or_b64 vcc, s[0:1], vcc
	v_addc_co_u32_e32 v8, vcc, 0, v4, vcc
	v_add_u32_e32 v4, 0x800, v21
	ds_read2_b32 v[4:5], v4 offset0:13 offset1:88
	v_cmp_gt_i32_e32 vcc, 31, v7
	v_cndmask_b32_e32 v8, v6, v8, vcc
	v_cmp_ne_u32_e32 vcc, 0, v0
	v_cndmask_b32_e64 v0, 0, 1, vcc
	s_waitcnt lgkmcnt(0)
	v_lshrrev_b32_e32 v13, 16, v4
	s_waitcnt vmcnt(3)
	v_mul_f16_sdwa v15, v13, v10 dst_sel:DWORD dst_unused:UNUSED_PAD src0_sel:DWORD src1_sel:WORD_1
	v_fma_f16 v15, v4, v10, v15
	v_cvt_f32_f16_e32 v15, v15
	v_lshl_or_b32 v0, v0, 9, v6
	v_cmp_eq_u32_e32 vcc, s16, v7
	v_cndmask_b32_e32 v0, v8, v0, vcc
	v_cvt_f64_f32_e32 v[7:8], v15
	v_lshrrev_b32_e32 v1, 16, v1
	v_and_or_b32 v15, v1, s10, v0
	v_add_co_u32_e32 v2, vcc, s3, v2
	v_mul_f64 v[0:1], v[7:8], s[14:15]
	v_mov_b32_e32 v8, s2
	v_and_b32_e32 v9, 0xffff, v9
	v_addc_co_u32_e32 v3, vcc, v3, v8, vcc
	v_lshl_or_b32 v7, v15, 16, v9
	global_store_dword v[2:3], v7, off
	v_mul_f16_sdwa v4, v4, v10 dst_sel:DWORD dst_unused:UNUSED_PAD src0_sel:DWORD src1_sel:WORD_1
	v_and_or_b32 v0, v1, s18, v0
	v_cmp_ne_u32_e32 vcc, 0, v0
	v_cndmask_b32_e64 v0, 0, 1, vcc
	v_lshrrev_b32_e32 v7, 8, v1
	v_bfe_u32 v8, v1, 20, 11
	v_and_or_b32 v0, v7, s17, v0
	v_sub_u32_e32 v9, 0x3f1, v8
	v_or_b32_e32 v7, 0x1000, v0
	v_med3_i32 v9, v9, 0, 13
	v_lshrrev_b32_e32 v15, v9, v7
	v_lshlrev_b32_e32 v9, v9, v15
	v_cmp_ne_u32_e32 vcc, v9, v7
	v_fma_f16 v4, v10, v13, -v4
	v_cndmask_b32_e64 v7, 0, 1, vcc
	v_add_u32_e32 v9, 0xfffffc10, v8
	v_cvt_f32_f16_e32 v4, v4
	v_or_b32_e32 v7, v15, v7
	v_lshl_or_b32 v8, v9, 12, v0
	v_cmp_gt_i32_e32 vcc, 1, v9
	v_cndmask_b32_e32 v7, v8, v7, vcc
	v_and_b32_e32 v8, 7, v7
	v_cmp_lt_i32_e32 vcc, 5, v8
	v_cmp_eq_u32_e64 s[0:1], 3, v8
	v_lshrrev_b32_e32 v10, 2, v7
	v_cvt_f64_f32_e32 v[7:8], v4
	s_or_b64 vcc, s[0:1], vcc
	v_addc_co_u32_e32 v4, vcc, 0, v10, vcc
	v_mul_f64 v[7:8], v[7:8], s[14:15]
	v_cmp_gt_i32_e32 vcc, 31, v9
	v_cndmask_b32_e32 v4, v6, v4, vcc
	v_cmp_ne_u32_e32 vcc, 0, v0
	v_cndmask_b32_e64 v0, 0, 1, vcc
	v_lshl_or_b32 v0, v0, 9, v6
	v_cmp_eq_u32_e32 vcc, s16, v9
	v_cndmask_b32_e32 v0, v4, v0, vcc
	v_lshrrev_b32_e32 v1, 16, v1
	v_and_or_b32 v4, v1, s10, v0
	v_and_or_b32 v0, v8, s18, v7
	v_cmp_ne_u32_e32 vcc, 0, v0
	v_cndmask_b32_e64 v0, 0, 1, vcc
	v_lshrrev_b32_e32 v1, 8, v8
	v_bfe_u32 v7, v8, 20, 11
	v_and_or_b32 v0, v1, s17, v0
	v_sub_u32_e32 v9, 0x3f1, v7
	v_or_b32_e32 v1, 0x1000, v0
	v_med3_i32 v9, v9, 0, 13
	v_lshrrev_b32_e32 v10, v9, v1
	v_lshlrev_b32_e32 v9, v9, v10
	v_cmp_ne_u32_e32 vcc, v9, v1
	v_cndmask_b32_e64 v1, 0, 1, vcc
	v_add_u32_e32 v7, 0xfffffc10, v7
	v_or_b32_e32 v1, v10, v1
	v_lshl_or_b32 v9, v7, 12, v0
	v_cmp_gt_i32_e32 vcc, 1, v7
	v_cndmask_b32_e32 v1, v9, v1, vcc
	v_and_b32_e32 v9, 7, v1
	v_cmp_lt_i32_e32 vcc, 5, v9
	v_cmp_eq_u32_e64 s[0:1], 3, v9
	v_lshrrev_b32_e32 v9, 16, v5
	v_lshrrev_b32_e32 v1, 2, v1
	s_or_b64 vcc, s[0:1], vcc
	s_waitcnt vmcnt(3)
	v_mul_f16_sdwa v10, v9, v11 dst_sel:DWORD dst_unused:UNUSED_PAD src0_sel:DWORD src1_sel:WORD_1
	v_addc_co_u32_e32 v1, vcc, 0, v1, vcc
	v_fma_f16 v10, v5, v11, v10
	v_cmp_gt_i32_e32 vcc, 31, v7
	v_cvt_f32_f16_e32 v10, v10
	v_cndmask_b32_e32 v1, v6, v1, vcc
	v_cmp_ne_u32_e32 vcc, 0, v0
	v_cndmask_b32_e64 v0, 0, 1, vcc
	v_lshl_or_b32 v0, v0, 9, v6
	v_cmp_eq_u32_e32 vcc, s16, v7
	v_cndmask_b32_e32 v7, v1, v0, vcc
	v_cvt_f64_f32_e32 v[0:1], v10
	v_lshrrev_b32_e32 v8, 16, v8
	v_and_or_b32 v7, v8, s10, v7
	v_and_b32_e32 v4, 0xffff, v4
	v_mul_f64 v[0:1], v[0:1], s[14:15]
	v_lshl_or_b32 v4, v7, 16, v4
	v_mov_b32_e32 v7, s2
	v_add_co_u32_e32 v2, vcc, s3, v2
	v_addc_co_u32_e32 v3, vcc, v3, v7, vcc
	global_store_dword v[2:3], v4, off
	v_and_or_b32 v0, v1, s18, v0
	v_cmp_ne_u32_e32 vcc, 0, v0
	v_cndmask_b32_e64 v0, 0, 1, vcc
	v_lshrrev_b32_e32 v4, 8, v1
	v_bfe_u32 v7, v1, 20, 11
	v_and_or_b32 v0, v4, s17, v0
	v_sub_u32_e32 v8, 0x3f1, v7
	v_or_b32_e32 v4, 0x1000, v0
	v_med3_i32 v8, v8, 0, 13
	v_lshrrev_b32_e32 v10, v8, v4
	v_lshlrev_b32_e32 v8, v8, v10
	v_mul_f16_sdwa v5, v5, v11 dst_sel:DWORD dst_unused:UNUSED_PAD src0_sel:DWORD src1_sel:WORD_1
	v_cmp_ne_u32_e32 vcc, v8, v4
	v_fma_f16 v5, v11, v9, -v5
	v_cndmask_b32_e64 v4, 0, 1, vcc
	v_add_u32_e32 v7, 0xfffffc10, v7
	v_cvt_f32_f16_e32 v5, v5
	v_or_b32_e32 v4, v10, v4
	v_lshl_or_b32 v8, v7, 12, v0
	v_cmp_gt_i32_e32 vcc, 1, v7
	v_cndmask_b32_e32 v4, v8, v4, vcc
	v_and_b32_e32 v8, 7, v4
	v_cmp_lt_i32_e32 vcc, 5, v8
	v_cmp_eq_u32_e64 s[0:1], 3, v8
	v_lshrrev_b32_e32 v8, 2, v4
	v_cvt_f64_f32_e32 v[4:5], v5
	s_or_b64 vcc, s[0:1], vcc
	v_addc_co_u32_e32 v8, vcc, 0, v8, vcc
	v_mul_f64 v[4:5], v[4:5], s[14:15]
	v_cmp_gt_i32_e32 vcc, 31, v7
	v_cndmask_b32_e32 v8, v6, v8, vcc
	v_cmp_ne_u32_e32 vcc, 0, v0
	v_cndmask_b32_e64 v0, 0, 1, vcc
	v_lshl_or_b32 v0, v0, 9, v6
	v_cmp_eq_u32_e32 vcc, s16, v7
	v_cndmask_b32_e32 v0, v8, v0, vcc
	v_lshrrev_b32_e32 v1, 16, v1
	v_and_or_b32 v7, v1, s10, v0
	v_and_or_b32 v0, v5, s18, v4
	v_cmp_ne_u32_e32 vcc, 0, v0
	v_cndmask_b32_e64 v0, 0, 1, vcc
	v_lshrrev_b32_e32 v1, 8, v5
	v_bfe_u32 v4, v5, 20, 11
	v_and_or_b32 v0, v1, s17, v0
	v_sub_u32_e32 v8, 0x3f1, v4
	v_or_b32_e32 v1, 0x1000, v0
	v_med3_i32 v8, v8, 0, 13
	v_lshrrev_b32_e32 v9, v8, v1
	v_lshlrev_b32_e32 v8, v8, v9
	v_cmp_ne_u32_e32 vcc, v8, v1
	v_cndmask_b32_e64 v1, 0, 1, vcc
	v_add_u32_e32 v4, 0xfffffc10, v4
	v_or_b32_e32 v1, v9, v1
	v_lshl_or_b32 v8, v4, 12, v0
	v_cmp_gt_i32_e32 vcc, 1, v4
	v_cndmask_b32_e32 v1, v8, v1, vcc
	v_and_b32_e32 v8, 7, v1
	v_cmp_lt_i32_e32 vcc, 5, v8
	v_cmp_eq_u32_e64 s[0:1], 3, v8
	v_lshrrev_b32_e32 v8, 16, v12
	v_lshrrev_b32_e32 v1, 2, v1
	s_or_b64 vcc, s[0:1], vcc
	s_waitcnt vmcnt(3)
	v_mul_f16_sdwa v9, v8, v14 dst_sel:DWORD dst_unused:UNUSED_PAD src0_sel:DWORD src1_sel:WORD_1
	v_addc_co_u32_e32 v1, vcc, 0, v1, vcc
	v_fma_f16 v9, v12, v14, v9
	v_cmp_gt_i32_e32 vcc, 31, v4
	v_cvt_f32_f16_e32 v9, v9
	v_cndmask_b32_e32 v1, v6, v1, vcc
	v_cmp_ne_u32_e32 vcc, 0, v0
	v_cndmask_b32_e64 v0, 0, 1, vcc
	v_lshl_or_b32 v0, v0, 9, v6
	v_cmp_eq_u32_e32 vcc, s16, v4
	v_cndmask_b32_e32 v4, v1, v0, vcc
	v_cvt_f64_f32_e32 v[0:1], v9
	v_lshrrev_b32_e32 v5, 16, v5
	v_and_or_b32 v4, v5, s10, v4
	v_and_b32_e32 v5, 0xffff, v7
	v_mul_f64 v[0:1], v[0:1], s[14:15]
	v_lshl_or_b32 v4, v4, 16, v5
	v_mov_b32_e32 v5, s2
	v_add_co_u32_e32 v2, vcc, s3, v2
	v_addc_co_u32_e32 v3, vcc, v3, v5, vcc
	global_store_dword v[2:3], v4, off
	v_and_or_b32 v0, v1, s18, v0
	v_cmp_ne_u32_e32 vcc, 0, v0
	v_cndmask_b32_e64 v0, 0, 1, vcc
	v_lshrrev_b32_e32 v4, 8, v1
	v_bfe_u32 v5, v1, 20, 11
	v_and_or_b32 v0, v4, s17, v0
	v_sub_u32_e32 v7, 0x3f1, v5
	v_or_b32_e32 v4, 0x1000, v0
	v_med3_i32 v7, v7, 0, 13
	v_lshrrev_b32_e32 v9, v7, v4
	v_lshlrev_b32_e32 v7, v7, v9
	v_cmp_ne_u32_e32 vcc, v7, v4
	v_cndmask_b32_e64 v4, 0, 1, vcc
	v_or_b32_e32 v4, v9, v4
	v_mul_f16_sdwa v9, v12, v14 dst_sel:DWORD dst_unused:UNUSED_PAD src0_sel:DWORD src1_sel:WORD_1
	v_fma_f16 v8, v14, v8, -v9
	v_add_u32_e32 v7, 0xfffffc10, v5
	v_cvt_f32_f16_e32 v8, v8
	v_lshl_or_b32 v5, v7, 12, v0
	v_cmp_gt_i32_e32 vcc, 1, v7
	v_cndmask_b32_e32 v4, v5, v4, vcc
	v_and_b32_e32 v5, 7, v4
	v_cmp_lt_i32_e32 vcc, 5, v5
	v_cmp_eq_u32_e64 s[0:1], 3, v5
	v_lshrrev_b32_e32 v9, 2, v4
	v_cvt_f64_f32_e32 v[4:5], v8
	s_or_b64 vcc, s[0:1], vcc
	v_addc_co_u32_e32 v8, vcc, 0, v9, vcc
	v_mul_f64 v[4:5], v[4:5], s[14:15]
	v_cmp_gt_i32_e32 vcc, 31, v7
	v_cndmask_b32_e32 v8, v6, v8, vcc
	v_cmp_ne_u32_e32 vcc, 0, v0
	v_cndmask_b32_e64 v0, 0, 1, vcc
	v_lshl_or_b32 v0, v0, 9, v6
	v_cmp_eq_u32_e32 vcc, s16, v7
	v_cndmask_b32_e32 v0, v8, v0, vcc
	v_lshrrev_b32_e32 v1, 16, v1
	v_and_or_b32 v0, v1, s10, v0
	v_and_or_b32 v1, v5, s18, v4
	v_cmp_ne_u32_e32 vcc, 0, v1
	v_cndmask_b32_e64 v1, 0, 1, vcc
	v_lshrrev_b32_e32 v4, 8, v5
	v_bfe_u32 v7, v5, 20, 11
	v_and_or_b32 v1, v4, s17, v1
	v_sub_u32_e32 v8, 0x3f1, v7
	v_or_b32_e32 v4, 0x1000, v1
	v_med3_i32 v8, v8, 0, 13
	v_lshrrev_b32_e32 v9, v8, v4
	v_lshlrev_b32_e32 v8, v8, v9
	v_cmp_ne_u32_e32 vcc, v8, v4
	v_cndmask_b32_e64 v4, 0, 1, vcc
	v_add_u32_e32 v7, 0xfffffc10, v7
	v_or_b32_e32 v4, v9, v4
	v_lshl_or_b32 v8, v7, 12, v1
	v_cmp_gt_i32_e32 vcc, 1, v7
	v_cndmask_b32_e32 v4, v8, v4, vcc
	v_and_b32_e32 v8, 7, v4
	v_cmp_lt_i32_e32 vcc, 5, v8
	v_cmp_eq_u32_e64 s[0:1], 3, v8
	v_lshrrev_b32_e32 v4, 2, v4
	s_or_b64 vcc, s[0:1], vcc
	v_addc_co_u32_e32 v4, vcc, 0, v4, vcc
	v_cmp_gt_i32_e32 vcc, 31, v7
	v_cndmask_b32_e32 v4, v6, v4, vcc
	v_cmp_ne_u32_e32 vcc, 0, v1
	v_cndmask_b32_e64 v1, 0, 1, vcc
	v_lshl_or_b32 v1, v1, 9, v6
	v_cmp_eq_u32_e32 vcc, s16, v7
	v_cndmask_b32_e32 v1, v4, v1, vcc
	v_lshrrev_b32_e32 v4, 16, v5
	v_and_or_b32 v1, v4, s10, v1
	v_and_b32_e32 v0, 0xffff, v0
	v_lshl_or_b32 v4, v1, 16, v0
	v_mov_b32_e32 v1, s2
	v_add_co_u32_e32 v0, vcc, s3, v2
	v_addc_co_u32_e32 v1, vcc, v3, v1, vcc
	global_store_dword v[0:1], v4, off
.LBB0_31:
	s_endpgm
	.section	.rodata,"a",@progbits
	.p2align	6, 0x0
	.amdhsa_kernel bluestein_single_fwd_len750_dim1_half_op_CI_CI
		.amdhsa_group_segment_fixed_size 3000
		.amdhsa_private_segment_fixed_size 0
		.amdhsa_kernarg_size 104
		.amdhsa_user_sgpr_count 6
		.amdhsa_user_sgpr_private_segment_buffer 1
		.amdhsa_user_sgpr_dispatch_ptr 0
		.amdhsa_user_sgpr_queue_ptr 0
		.amdhsa_user_sgpr_kernarg_segment_ptr 1
		.amdhsa_user_sgpr_dispatch_id 0
		.amdhsa_user_sgpr_flat_scratch_init 0
		.amdhsa_user_sgpr_private_segment_size 0
		.amdhsa_uses_dynamic_stack 0
		.amdhsa_system_sgpr_private_segment_wavefront_offset 0
		.amdhsa_system_sgpr_workgroup_id_x 1
		.amdhsa_system_sgpr_workgroup_id_y 0
		.amdhsa_system_sgpr_workgroup_id_z 0
		.amdhsa_system_sgpr_workgroup_info 0
		.amdhsa_system_vgpr_workitem_id 0
		.amdhsa_next_free_vgpr 52
		.amdhsa_next_free_sgpr 20
		.amdhsa_reserve_vcc 1
		.amdhsa_reserve_flat_scratch 0
		.amdhsa_float_round_mode_32 0
		.amdhsa_float_round_mode_16_64 0
		.amdhsa_float_denorm_mode_32 3
		.amdhsa_float_denorm_mode_16_64 3
		.amdhsa_dx10_clamp 1
		.amdhsa_ieee_mode 1
		.amdhsa_fp16_overflow 0
		.amdhsa_exception_fp_ieee_invalid_op 0
		.amdhsa_exception_fp_denorm_src 0
		.amdhsa_exception_fp_ieee_div_zero 0
		.amdhsa_exception_fp_ieee_overflow 0
		.amdhsa_exception_fp_ieee_underflow 0
		.amdhsa_exception_fp_ieee_inexact 0
		.amdhsa_exception_int_div_zero 0
	.end_amdhsa_kernel
	.text
.Lfunc_end0:
	.size	bluestein_single_fwd_len750_dim1_half_op_CI_CI, .Lfunc_end0-bluestein_single_fwd_len750_dim1_half_op_CI_CI
                                        ; -- End function
	.section	.AMDGPU.csdata,"",@progbits
; Kernel info:
; codeLenInByte = 12868
; NumSgprs: 24
; NumVgprs: 52
; ScratchSize: 0
; MemoryBound: 0
; FloatMode: 240
; IeeeMode: 1
; LDSByteSize: 3000 bytes/workgroup (compile time only)
; SGPRBlocks: 2
; VGPRBlocks: 12
; NumSGPRsForWavesPerEU: 24
; NumVGPRsForWavesPerEU: 52
; Occupancy: 4
; WaveLimiterHint : 1
; COMPUTE_PGM_RSRC2:SCRATCH_EN: 0
; COMPUTE_PGM_RSRC2:USER_SGPR: 6
; COMPUTE_PGM_RSRC2:TRAP_HANDLER: 0
; COMPUTE_PGM_RSRC2:TGID_X_EN: 1
; COMPUTE_PGM_RSRC2:TGID_Y_EN: 0
; COMPUTE_PGM_RSRC2:TGID_Z_EN: 0
; COMPUTE_PGM_RSRC2:TIDIG_COMP_CNT: 0
	.type	__hip_cuid_4b94b81e358a9752,@object ; @__hip_cuid_4b94b81e358a9752
	.section	.bss,"aw",@nobits
	.globl	__hip_cuid_4b94b81e358a9752
__hip_cuid_4b94b81e358a9752:
	.byte	0                               ; 0x0
	.size	__hip_cuid_4b94b81e358a9752, 1

	.ident	"AMD clang version 19.0.0git (https://github.com/RadeonOpenCompute/llvm-project roc-6.4.0 25133 c7fe45cf4b819c5991fe208aaa96edf142730f1d)"
	.section	".note.GNU-stack","",@progbits
	.addrsig
	.addrsig_sym __hip_cuid_4b94b81e358a9752
	.amdgpu_metadata
---
amdhsa.kernels:
  - .args:
      - .actual_access:  read_only
        .address_space:  global
        .offset:         0
        .size:           8
        .value_kind:     global_buffer
      - .actual_access:  read_only
        .address_space:  global
        .offset:         8
        .size:           8
        .value_kind:     global_buffer
      - .actual_access:  read_only
        .address_space:  global
        .offset:         16
        .size:           8
        .value_kind:     global_buffer
      - .actual_access:  read_only
        .address_space:  global
        .offset:         24
        .size:           8
        .value_kind:     global_buffer
      - .actual_access:  read_only
        .address_space:  global
        .offset:         32
        .size:           8
        .value_kind:     global_buffer
      - .offset:         40
        .size:           8
        .value_kind:     by_value
      - .address_space:  global
        .offset:         48
        .size:           8
        .value_kind:     global_buffer
      - .address_space:  global
        .offset:         56
        .size:           8
        .value_kind:     global_buffer
      - .address_space:  global
        .offset:         64
        .size:           8
        .value_kind:     global_buffer
      - .address_space:  global
        .offset:         72
        .size:           8
        .value_kind:     global_buffer
      - .offset:         80
        .size:           4
        .value_kind:     by_value
      - .address_space:  global
        .offset:         88
        .size:           8
        .value_kind:     global_buffer
      - .address_space:  global
        .offset:         96
        .size:           8
        .value_kind:     global_buffer
    .group_segment_fixed_size: 3000
    .kernarg_segment_align: 8
    .kernarg_segment_size: 104
    .language:       OpenCL C
    .language_version:
      - 2
      - 0
    .max_flat_workgroup_size: 250
    .name:           bluestein_single_fwd_len750_dim1_half_op_CI_CI
    .private_segment_fixed_size: 0
    .sgpr_count:     24
    .sgpr_spill_count: 0
    .symbol:         bluestein_single_fwd_len750_dim1_half_op_CI_CI.kd
    .uniform_work_group_size: 1
    .uses_dynamic_stack: false
    .vgpr_count:     52
    .vgpr_spill_count: 0
    .wavefront_size: 64
amdhsa.target:   amdgcn-amd-amdhsa--gfx906
amdhsa.version:
  - 1
  - 2
...

	.end_amdgpu_metadata
